;; amdgpu-corpus repo=zjin-lcf/HeCBench kind=compiled arch=gfx1100 opt=O3
	.text
	.amdgcn_target "amdgcn-amd-amdhsa--gfx1100"
	.amdhsa_code_object_version 6
	.protected	_Z6InputsPiPN2rw3CutEi  ; -- Begin function _Z6InputsPiPN2rw3CutEi
	.globl	_Z6InputsPiPN2rw3CutEi
	.p2align	8
	.type	_Z6InputsPiPN2rw3CutEi,@function
_Z6InputsPiPN2rw3CutEi:                 ; @_Z6InputsPiPN2rw3CutEi
; %bb.0:
	s_clause 0x1
	s_load_b32 s2, s[0:1], 0x24
	s_load_b32 s3, s[0:1], 0x10
	s_waitcnt lgkmcnt(0)
	s_and_b32 s2, s2, 0xffff
	s_delay_alu instid0(SALU_CYCLE_1) | instskip(SKIP_2) | instid1(VALU_DEP_1)
	s_mul_i32 s15, s15, s2
	s_mov_b32 s2, exec_lo
	v_add3_u32 v1, v0, s15, 1
	v_cmpx_ge_i32_e64 s3, v1
	s_cbranch_execz .LBB0_2
; %bb.1:
	s_load_b64 s[0:1], s[0:1], 0x8
	v_dual_mov_b32 v5, 1 :: v_dual_lshlrev_b32 v0, 3, v1
	s_waitcnt lgkmcnt(0)
	s_delay_alu instid0(VALU_DEP_1)
	v_mad_i64_i32 v[2:3], null, v0, 28, s[0:1]
	v_lshlrev_b32_e64 v0, v1, 1
	s_brev_b32 s0, 1
	global_load_b32 v4, v[2:3], off offset:20
	s_waitcnt vmcnt(0)
	v_and_or_b32 v4, v4, s0, 0xbe9aaaa
	s_clause 0x2
	global_store_b64 v[2:3], v[0:1], off
	global_store_b8 v[2:3], v5, off offset:24
	global_store_b32 v[2:3], v4, off offset:20
.LBB0_2:
	s_nop 0
	s_sendmsg sendmsg(MSG_DEALLOC_VGPRS)
	s_endpgm
	.section	.rodata,"a",@progbits
	.p2align	6, 0x0
	.amdhsa_kernel _Z6InputsPiPN2rw3CutEi
		.amdhsa_group_segment_fixed_size 0
		.amdhsa_private_segment_fixed_size 0
		.amdhsa_kernarg_size 280
		.amdhsa_user_sgpr_count 15
		.amdhsa_user_sgpr_dispatch_ptr 0
		.amdhsa_user_sgpr_queue_ptr 0
		.amdhsa_user_sgpr_kernarg_segment_ptr 1
		.amdhsa_user_sgpr_dispatch_id 0
		.amdhsa_user_sgpr_private_segment_size 0
		.amdhsa_wavefront_size32 1
		.amdhsa_uses_dynamic_stack 0
		.amdhsa_enable_private_segment 0
		.amdhsa_system_sgpr_workgroup_id_x 1
		.amdhsa_system_sgpr_workgroup_id_y 0
		.amdhsa_system_sgpr_workgroup_id_z 0
		.amdhsa_system_sgpr_workgroup_info 0
		.amdhsa_system_vgpr_workitem_id 0
		.amdhsa_next_free_vgpr 6
		.amdhsa_next_free_sgpr 16
		.amdhsa_reserve_vcc 0
		.amdhsa_float_round_mode_32 0
		.amdhsa_float_round_mode_16_64 0
		.amdhsa_float_denorm_mode_32 3
		.amdhsa_float_denorm_mode_16_64 3
		.amdhsa_dx10_clamp 1
		.amdhsa_ieee_mode 1
		.amdhsa_fp16_overflow 0
		.amdhsa_workgroup_processor_mode 1
		.amdhsa_memory_ordered 1
		.amdhsa_forward_progress 0
		.amdhsa_shared_vgpr_count 0
		.amdhsa_exception_fp_ieee_invalid_op 0
		.amdhsa_exception_fp_denorm_src 0
		.amdhsa_exception_fp_ieee_div_zero 0
		.amdhsa_exception_fp_ieee_overflow 0
		.amdhsa_exception_fp_ieee_underflow 0
		.amdhsa_exception_fp_ieee_inexact 0
		.amdhsa_exception_int_div_zero 0
	.end_amdhsa_kernel
	.text
.Lfunc_end0:
	.size	_Z6InputsPiPN2rw3CutEi, .Lfunc_end0-_Z6InputsPiPN2rw3CutEi
                                        ; -- End function
	.section	.AMDGPU.csdata,"",@progbits
; Kernel info:
; codeLenInByte = 172
; NumSgprs: 16
; NumVgprs: 6
; ScratchSize: 0
; MemoryBound: 0
; FloatMode: 240
; IeeeMode: 1
; LDSByteSize: 0 bytes/workgroup (compile time only)
; SGPRBlocks: 1
; VGPRBlocks: 0
; NumSGPRsForWavesPerEU: 16
; NumVGPRsForWavesPerEU: 6
; Occupancy: 16
; WaveLimiterHint : 0
; COMPUTE_PGM_RSRC2:SCRATCH_EN: 0
; COMPUTE_PGM_RSRC2:USER_SGPR: 15
; COMPUTE_PGM_RSRC2:TRAP_HANDLER: 0
; COMPUTE_PGM_RSRC2:TGID_X_EN: 1
; COMPUTE_PGM_RSRC2:TGID_Y_EN: 0
; COMPUTE_PGM_RSRC2:TGID_Z_EN: 0
; COMPUTE_PGM_RSRC2:TIDIG_COMP_CNT: 0
	.text
	.protected	_Z12CutEnumeratePiS_S_S_S_PN2rw3CutEii ; -- Begin function _Z12CutEnumeratePiS_S_S_S_PN2rw3CutEii
	.globl	_Z12CutEnumeratePiS_S_S_S_PN2rw3CutEii
	.p2align	8
	.type	_Z12CutEnumeratePiS_S_S_S_PN2rw3CutEii,@function
_Z12CutEnumeratePiS_S_S_S_PN2rw3CutEii: ; @_Z12CutEnumeratePiS_S_S_S_PN2rw3CutEii
; %bb.0:
	s_clause 0x1
	s_load_b32 s4, s[2:3], 0x44
	s_load_b64 s[16:17], s[2:3], 0x30
	v_and_b32_e32 v1, 0x3ff, v0
	s_waitcnt lgkmcnt(0)
	s_and_b32 s4, s4, 0xffff
	s_delay_alu instid0(VALU_DEP_1) | instid1(SALU_CYCLE_1)
	v_mad_u64_u32 v[2:3], null, s15, s4, v[1:2]
	s_mov_b32 s4, exec_lo
	s_delay_alu instid0(VALU_DEP_1)
	v_cmpx_gt_i32_e64 s17, v2
	s_cbranch_execz .LBB1_535
; %bb.1:
	s_load_b128 s[12:15], s[2:3], 0x20
	v_add3_u32 v3, s16, 1, v2
	s_load_b256 s[4:11], s[2:3], 0x0
	v_ashrrev_i32_e32 v5, 31, v2
	s_ashr_i32 s2, s16, 31
	v_mov_b32_e32 v30, 1
	v_lshlrev_b32_e32 v4, 3, v3
	s_load_b64 s[0:1], s[0:1], 0x4
	v_add_nc_u32_e64 v31, 0x54, 4
	v_add_nc_u32_e64 v32, 56, 4
	;; [unrolled: 1-line block ×9, first 2 shown]
	v_mov_b32_e32 v48, 0
	s_waitcnt lgkmcnt(0)
	v_mad_i64_i32 v[12:13], null, v4, 28, s[14:15]
	v_add_co_u32 v4, vcc_lo, s16, v2
	v_add_co_ci_u32_e32 v5, vcc_lo, s2, v5, vcc_lo
	s_brev_b32 s2, 1
	v_lshlrev_b32_e64 v2, v3, 1
	global_load_b32 v8, v[12:13], off offset:20
	v_lshlrev_b64 v[4:5], 2, v[4:5]
	s_lshr_b32 s0, s0, 16
	s_delay_alu instid0(SALU_CYCLE_1) | instskip(NEXT) | instid1(SALU_CYCLE_1)
	s_mul_i32 s0, s0, s1
	v_mul_lo_u32 v1, s0, v1
	s_delay_alu instid0(VALU_DEP_2) | instskip(NEXT) | instid1(VALU_DEP_3)
	v_add_co_u32 v6, vcc_lo, s4, v4
	v_add_co_ci_u32_e32 v7, vcc_lo, s5, v5, vcc_lo
	s_mov_b32 s4, 0
	s_mov_b32 s5, 0
	s_waitcnt vmcnt(0)
	v_and_or_b32 v10, v8, s2, 0xbe9aaaa
	v_add_co_u32 v8, vcc_lo, s6, v4
	v_add_co_ci_u32_e32 v9, vcc_lo, s7, v5, vcc_lo
	s_clause 0x2
	global_store_b64 v[12:13], v[2:3], off
	global_store_b8 v[12:13], v30, off offset:24
	global_store_b32 v[12:13], v10, off offset:20
	global_load_b32 v2, v[6:7], off offset:4
	global_load_b32 v3, v[8:9], off offset:4
	v_bfe_u32 v6, v0, 10, 10
	v_bfe_u32 v0, v0, 20, 10
	v_add_co_u32 v14, vcc_lo, s8, v4
	v_add_co_ci_u32_e32 v15, vcc_lo, s9, v5, vcc_lo
	s_delay_alu instid0(VALU_DEP_4) | instskip(SKIP_2) | instid1(VALU_DEP_3)
	v_mul_u32_u24_e32 v6, s1, v6
	v_add_co_u32 v16, vcc_lo, s10, v4
	v_add_co_ci_u32_e32 v17, vcc_lo, s11, v5, vcc_lo
	v_add3_u32 v0, v1, v6, v0
	v_add_co_u32 v18, vcc_lo, v12, 24
	v_add_co_ci_u32_e32 v19, vcc_lo, 0, v13, vcc_lo
	s_delay_alu instid0(VALU_DEP_3) | instskip(SKIP_3) | instid1(VALU_DEP_4)
	v_mul_lo_u32 v1, v0, 28
	v_add_co_u32 v20, vcc_lo, v12, 20
	v_add_co_ci_u32_e32 v21, vcc_lo, 0, v13, vcc_lo
	v_lshl_add_u32 v40, v0, 1, v0
	v_add_nc_u32_e32 v41, 0x7c00, v1
	v_add_nc_u32_e32 v42, 0xc00, v1
	;; [unrolled: 1-line block ×5, first 2 shown]
	s_waitcnt vmcnt(1)
	v_lshlrev_b32_e32 v46, 3, v2
	s_waitcnt vmcnt(0)
	v_lshlrev_b32_e32 v47, 3, v3
	s_branch .LBB1_3
.LBB1_2:                                ;   in Loop: Header=BB1_3 Depth=1
	s_or_b32 exec_lo, exec_lo, s2
	s_delay_alu instid0(SALU_CYCLE_1) | instskip(NEXT) | instid1(SALU_CYCLE_1)
	s_and_b32 s0, exec_lo, s1
	s_or_b32 s4, s0, s4
	s_delay_alu instid0(SALU_CYCLE_1)
	s_and_not1_b32 exec_lo, exec_lo, s4
	s_cbranch_execz .LBB1_535
.LBB1_3:                                ; =>This Loop Header: Depth=1
                                        ;     Child Loop BB1_6 Depth 2
                                        ;       Child Loop BB1_297 Depth 3
                                        ;         Child Loop BB1_304 Depth 4
                                        ;           Child Loop BB1_306 Depth 5
                                        ;         Child Loop BB1_318 Depth 4
                                        ;           Child Loop BB1_320 Depth 5
                                        ;       Child Loop BB1_338 Depth 3
                                        ;         Child Loop BB1_340 Depth 4
                                        ;       Child Loop BB1_348 Depth 3
                                        ;       Child Loop BB1_364 Depth 3
	;; [unrolled: 1-line block ×4, first 2 shown]
                                        ;         Child Loop BB1_390 Depth 4
                                        ;       Child Loop BB1_398 Depth 3
                                        ;       Child Loop BB1_414 Depth 3
                                        ;       Child Loop BB1_426 Depth 3
                                        ;       Child Loop BB1_437 Depth 3
                                        ;       Child Loop BB1_446 Depth 3
                                        ;       Child Loop BB1_462 Depth 3
                                        ;       Child Loop BB1_477 Depth 3
                                        ;       Child Loop BB1_482 Depth 3
                                        ;         Child Loop BB1_489 Depth 4
                                        ;           Child Loop BB1_491 Depth 5
                                        ;         Child Loop BB1_503 Depth 4
                                        ;           Child Loop BB1_505 Depth 5
                                        ;       Child Loop BB1_522 Depth 3
	s_delay_alu instid0(VALU_DEP_2) | instskip(SKIP_2) | instid1(VALU_DEP_1)
	v_add_nc_u32_e32 v0, s5, v46
	s_mov_b32 s0, -1
	s_mov_b32 s6, exec_lo
	v_mad_i64_i32 v[22:23], null, v0, 28, s[14:15]
	global_load_u8 v0, v[22:23], off offset:24
	s_waitcnt vmcnt(0)
	v_and_b32_e32 v0, 1, v0
	s_delay_alu instid0(VALU_DEP_1)
	v_cmpx_eq_u32_e32 1, v0
	s_cbranch_execz .LBB1_533
; %bb.4:                                ;   in Loop: Header=BB1_3 Depth=1
	s_mov_b32 s7, 0
	s_mov_b32 s8, 0
                                        ; implicit-def: $sgpr9
	s_branch .LBB1_6
.LBB1_5:                                ;   in Loop: Header=BB1_6 Depth=2
	s_or_b32 exec_lo, exec_lo, s2
	s_xor_b32 s0, s0, -1
	s_and_b32 s1, exec_lo, s10
	s_delay_alu instid0(SALU_CYCLE_1) | instskip(SKIP_2) | instid1(SALU_CYCLE_1)
	s_or_b32 s7, s1, s7
	s_and_not1_b32 s1, s9, exec_lo
	s_and_b32 s0, s0, exec_lo
	s_or_b32 s9, s1, s0
	s_and_not1_b32 exec_lo, exec_lo, s7
	s_cbranch_execz .LBB1_532
.LBB1_6:                                ;   Parent Loop BB1_3 Depth=1
                                        ; =>  This Loop Header: Depth=2
                                        ;       Child Loop BB1_297 Depth 3
                                        ;         Child Loop BB1_304 Depth 4
                                        ;           Child Loop BB1_306 Depth 5
                                        ;         Child Loop BB1_318 Depth 4
                                        ;           Child Loop BB1_320 Depth 5
                                        ;       Child Loop BB1_338 Depth 3
                                        ;         Child Loop BB1_340 Depth 4
                                        ;       Child Loop BB1_348 Depth 3
                                        ;       Child Loop BB1_364 Depth 3
	;; [unrolled: 1-line block ×4, first 2 shown]
                                        ;         Child Loop BB1_390 Depth 4
                                        ;       Child Loop BB1_398 Depth 3
                                        ;       Child Loop BB1_414 Depth 3
                                        ;       Child Loop BB1_426 Depth 3
                                        ;       Child Loop BB1_437 Depth 3
                                        ;       Child Loop BB1_446 Depth 3
                                        ;       Child Loop BB1_462 Depth 3
                                        ;       Child Loop BB1_477 Depth 3
                                        ;       Child Loop BB1_482 Depth 3
                                        ;         Child Loop BB1_489 Depth 4
                                        ;           Child Loop BB1_491 Depth 5
                                        ;         Child Loop BB1_503 Depth 4
                                        ;           Child Loop BB1_505 Depth 5
                                        ;       Child Loop BB1_522 Depth 3
	v_add_nc_u32_e32 v0, s8, v47
	s_mov_b32 s10, -1
	s_mov_b32 s1, -1
	s_mov_b32 s11, exec_lo
                                        ; implicit-def: $sgpr0
	s_delay_alu instid0(VALU_DEP_1) | instskip(SKIP_3) | instid1(VALU_DEP_1)
	v_mad_i64_i32 v[8:9], null, v0, 28, s[14:15]
	global_load_u8 v50, v[8:9], off offset:24
	s_waitcnt vmcnt(0)
	v_and_b32_e32 v0, 1, v50
	v_cmpx_eq_u32_e32 1, v0
	s_cbranch_execz .LBB1_530
; %bb.7:                                ;   in Loop: Header=BB1_6 Depth=2
	s_clause 0x5
	global_load_b128 v[4:7], v[22:23], off
	global_load_b128 v[0:3], v[8:9], off
	global_load_b64 v[28:29], v[22:23], off offset:16
	global_load_u16 v11, v[8:9], off offset:25
	global_load_u8 v24, v[8:9], off offset:27
	global_load_b64 v[26:27], v[8:9], off offset:16
	s_waitcnt vmcnt(2)
	ds_store_b16 v40, v11
	s_waitcnt vmcnt(1)
	ds_store_b8 v40, v24 offset:2
	v_or_b32_e32 v10, v0, v4
	s_delay_alu instid0(VALU_DEP_1) | instskip(SKIP_1) | instid1(VALU_DEP_2)
	v_lshrrev_b32_e32 v8, 1, v10
	v_and_b32_e32 v9, 0x55555555, v10
	v_and_b32_e32 v8, 0x55555555, v8
	s_delay_alu instid0(VALU_DEP_1) | instskip(NEXT) | instid1(VALU_DEP_1)
	v_add_nc_u32_e32 v8, v8, v9
	v_lshrrev_b32_e32 v9, 2, v8
	v_and_b32_e32 v8, 0x33333333, v8
	s_delay_alu instid0(VALU_DEP_2) | instskip(NEXT) | instid1(VALU_DEP_1)
	v_and_b32_e32 v9, 0x33333333, v9
	v_add_nc_u32_e32 v8, v9, v8
	s_delay_alu instid0(VALU_DEP_1) | instskip(SKIP_1) | instid1(VALU_DEP_2)
	v_lshrrev_b32_e32 v9, 4, v8
	v_and_b32_e32 v8, 0x7070707, v8
	v_and_b32_e32 v9, 0x7070707, v9
	s_delay_alu instid0(VALU_DEP_1) | instskip(NEXT) | instid1(VALU_DEP_1)
	v_add_nc_u32_e32 v8, v9, v8
	v_lshrrev_b32_e32 v9, 8, v8
	v_and_b32_e32 v8, 0xf000f, v8
	s_delay_alu instid0(VALU_DEP_2) | instskip(NEXT) | instid1(VALU_DEP_1)
	v_and_b32_e32 v9, 0xf000f, v9
	v_add_nc_u32_e32 v8, v9, v8
	s_delay_alu instid0(VALU_DEP_1) | instskip(SKIP_1) | instid1(VALU_DEP_1)
	v_and_b32_e32 v9, 31, v8
	v_lshrrev_b32_e32 v8, 16, v8
	v_add_nc_u32_e32 v8, v9, v8
	s_delay_alu instid0(VALU_DEP_1)
	v_cmp_gt_u32_e32 vcc_lo, 5, v8
	v_mov_b32_e32 v8, 7
	s_and_saveexec_b32 s16, vcc_lo
	s_cbranch_execz .LBB1_527
; %bb.8:                                ;   in Loop: Header=BB1_6 Depth=2
	s_clause 0x1
	global_load_u8 v8, v[18:19], off
	global_load_u8 v51, v[22:23], off offset:24
	v_mov_b32_e32 v49, 0
	s_mov_b32 s1, exec_lo
	s_waitcnt vmcnt(1)
	v_cmpx_ne_u16_e32 0, v8
	s_cbranch_execz .LBB1_154
; %bb.9:                                ;   in Loop: Header=BB1_6 Depth=2
	global_load_u8 v8, v[18:19], off offset:28
	v_mov_b32_e32 v49, 1
	s_mov_b32 s2, exec_lo
	s_waitcnt vmcnt(0)
	v_cmpx_ne_u16_e32 0, v8
	s_cbranch_execz .LBB1_153
; %bb.10:                               ;   in Loop: Header=BB1_6 Depth=2
	global_load_u8 v8, v[18:19], off offset:56
	v_mov_b32_e32 v49, 2
	s_mov_b32 s3, exec_lo
	s_waitcnt vmcnt(0)
	v_cmpx_ne_u16_e32 0, v8
	s_cbranch_execz .LBB1_152
; %bb.11:                               ;   in Loop: Header=BB1_6 Depth=2
	;; [unrolled: 7-line block ×7, first 2 shown]
	s_clause 0x1
	global_load_b32 v54, v[20:21], off
	global_load_b32 v8, v[20:21], off offset:28
	s_mov_b32 s22, exec_lo
	s_waitcnt vmcnt(1)
	v_and_b32_e32 v56, 0x78000000, v54
	s_waitcnt vmcnt(0)
	v_and_b32_e32 v55, 0x78000000, v8
	s_delay_alu instid0(VALU_DEP_2) | instskip(SKIP_1) | instid1(VALU_DEP_2)
	v_cmp_gt_u32_e64 s23, 0x10000001, v56
	v_cmp_lt_u32_e32 vcc_lo, 0x10000000, v56
	v_cndmask_b32_e64 v49, 0, -1, s23
	s_delay_alu instid0(VALU_DEP_4)
	v_cmpx_lt_u32_e32 0x10000000, v55
	s_cbranch_execz .LBB1_22
; %bb.17:                               ;   in Loop: Header=BB1_6 Depth=2
                                        ; implicit-def: $sgpr24
	s_and_saveexec_b32 s0, vcc_lo
	s_cbranch_execz .LBB1_19
; %bb.18:                               ;   in Loop: Header=BB1_6 Depth=2
	v_mul_hi_i32_i24_e32 v25, 7, v49
	v_mul_i32_i24_e32 v24, 7, v49
	v_bfe_u32 v11, v8, 16, 11
	s_and_not1_b32 s23, s23, exec_lo
	s_mov_b32 s24, 0
	s_delay_alu instid0(VALU_DEP_2) | instskip(NEXT) | instid1(VALU_DEP_1)
	v_lshlrev_b64 v[24:25], 2, v[24:25]
	v_add_co_u32 v24, vcc_lo, v20, v24
	s_delay_alu instid0(VALU_DEP_2) | instskip(SKIP_3) | instid1(VALU_DEP_1)
	v_add_co_ci_u32_e32 v25, vcc_lo, v21, v25, vcc_lo
	global_load_b32 v9, v[24:25], off
	s_waitcnt vmcnt(0)
	v_bfe_u32 v9, v9, 16, 11
	v_cmp_lt_u32_e32 vcc_lo, v11, v9
	s_and_b32 s25, vcc_lo, exec_lo
	s_delay_alu instid0(SALU_CYCLE_1)
	s_or_b32 s23, s23, s25
.LBB1_19:                               ;   in Loop: Header=BB1_6 Depth=2
	s_or_b32 exec_lo, exec_lo, s0
	v_mov_b32_e32 v49, s24
	s_and_saveexec_b32 s0, s23
; %bb.20:                               ;   in Loop: Header=BB1_6 Depth=2
	v_mov_b32_e32 v49, 1
; %bb.21:                               ;   in Loop: Header=BB1_6 Depth=2
	s_or_b32 exec_lo, exec_lo, s0
.LBB1_22:                               ;   in Loop: Header=BB1_6 Depth=2
	s_delay_alu instid0(SALU_CYCLE_1) | instskip(SKIP_4) | instid1(VALU_DEP_1)
	s_or_b32 exec_lo, exec_lo, s22
	global_load_b32 v9, v[20:21], off offset:56
	s_mov_b32 s0, exec_lo
	s_waitcnt vmcnt(0)
	v_and_b32_e32 v57, 0x78000000, v9
	v_cmpx_lt_u32_e32 0x10000000, v57
	s_cbranch_execz .LBB1_28
; %bb.23:                               ;   in Loop: Header=BB1_6 Depth=2
	v_cmp_eq_u32_e64 s22, -1, v49
	s_mov_b32 s23, exec_lo
	v_cmpx_ne_u32_e32 -1, v49
	s_cbranch_execz .LBB1_25
; %bb.24:                               ;   in Loop: Header=BB1_6 Depth=2
	v_mul_hi_i32_i24_e32 v25, 7, v49
	v_mul_i32_i24_e32 v24, 7, v49
	s_and_not1_b32 s22, s22, exec_lo
	s_delay_alu instid0(VALU_DEP_1) | instskip(NEXT) | instid1(VALU_DEP_1)
	v_lshlrev_b64 v[24:25], 2, v[24:25]
	v_add_co_u32 v24, vcc_lo, v20, v24
	s_delay_alu instid0(VALU_DEP_2) | instskip(SKIP_4) | instid1(VALU_DEP_1)
	v_add_co_ci_u32_e32 v25, vcc_lo, v21, v25, vcc_lo
	global_load_b32 v11, v[24:25], off
	v_bfe_u32 v24, v9, 16, 11
	s_waitcnt vmcnt(0)
	v_bfe_u32 v11, v11, 16, 11
	v_cmp_lt_u32_e32 vcc_lo, v24, v11
	s_and_b32 s24, vcc_lo, exec_lo
	s_delay_alu instid0(SALU_CYCLE_1)
	s_or_b32 s22, s22, s24
.LBB1_25:                               ;   in Loop: Header=BB1_6 Depth=2
	s_or_b32 exec_lo, exec_lo, s23
	s_and_saveexec_b32 s23, s22
; %bb.26:                               ;   in Loop: Header=BB1_6 Depth=2
	v_mov_b32_e32 v49, 2
; %bb.27:                               ;   in Loop: Header=BB1_6 Depth=2
	s_or_b32 exec_lo, exec_lo, s23
.LBB1_28:                               ;   in Loop: Header=BB1_6 Depth=2
	s_delay_alu instid0(SALU_CYCLE_1) | instskip(SKIP_4) | instid1(VALU_DEP_1)
	s_or_b32 exec_lo, exec_lo, s0
	global_load_b32 v11, v[20:21], off offset:84
	s_mov_b32 s0, exec_lo
	s_waitcnt vmcnt(0)
	v_and_b32_e32 v58, 0x78000000, v11
	v_cmpx_lt_u32_e32 0x10000000, v58
	s_cbranch_execz .LBB1_34
; %bb.29:                               ;   in Loop: Header=BB1_6 Depth=2
	v_cmp_eq_u32_e64 s22, -1, v49
	s_mov_b32 s23, exec_lo
	v_cmpx_ne_u32_e32 -1, v49
	s_cbranch_execz .LBB1_31
; %bb.30:                               ;   in Loop: Header=BB1_6 Depth=2
	v_mul_hi_i32_i24_e32 v25, 7, v49
	v_mul_i32_i24_e32 v24, 7, v49
	s_and_not1_b32 s22, s22, exec_lo
	s_delay_alu instid0(VALU_DEP_1) | instskip(NEXT) | instid1(VALU_DEP_1)
	v_lshlrev_b64 v[24:25], 2, v[24:25]
	v_add_co_u32 v24, vcc_lo, v20, v24
	s_delay_alu instid0(VALU_DEP_2) | instskip(SKIP_4) | instid1(VALU_DEP_1)
	v_add_co_ci_u32_e32 v25, vcc_lo, v21, v25, vcc_lo
	global_load_b32 v24, v[24:25], off
	v_bfe_u32 v25, v11, 16, 11
	s_waitcnt vmcnt(0)
	v_bfe_u32 v24, v24, 16, 11
	v_cmp_lt_u32_e32 vcc_lo, v25, v24
	s_and_b32 s24, vcc_lo, exec_lo
	s_delay_alu instid0(SALU_CYCLE_1)
	s_or_b32 s22, s22, s24
.LBB1_31:                               ;   in Loop: Header=BB1_6 Depth=2
	s_or_b32 exec_lo, exec_lo, s23
	s_and_saveexec_b32 s23, s22
; %bb.32:                               ;   in Loop: Header=BB1_6 Depth=2
	v_mov_b32_e32 v49, 3
; %bb.33:                               ;   in Loop: Header=BB1_6 Depth=2
	s_or_b32 exec_lo, exec_lo, s23
.LBB1_34:                               ;   in Loop: Header=BB1_6 Depth=2
	;; [unrolled: 38-line block ×4, first 2 shown]
	s_delay_alu instid0(SALU_CYCLE_1) | instskip(SKIP_4) | instid1(VALU_DEP_1)
	s_or_b32 exec_lo, exec_lo, s0
	global_load_b32 v52, v[20:21], off offset:168
	s_mov_b32 s0, exec_lo
	s_waitcnt vmcnt(0)
	v_and_b32_e32 v61, 0x78000000, v52
	v_cmpx_lt_u32_e32 0x10000000, v61
	s_cbranch_execz .LBB1_52
; %bb.47:                               ;   in Loop: Header=BB1_6 Depth=2
	v_cmp_eq_u32_e64 s22, -1, v49
	s_mov_b32 s23, exec_lo
	v_cmpx_ne_u32_e32 -1, v49
	s_cbranch_execz .LBB1_49
; %bb.48:                               ;   in Loop: Header=BB1_6 Depth=2
	v_mad_i64_i32 v[62:63], null, v49, 28, v[20:21]
	s_and_not1_b32 s22, s22, exec_lo
	global_load_b32 v53, v[62:63], off
	v_bfe_u32 v62, v52, 16, 11
	s_waitcnt vmcnt(0)
	v_bfe_u32 v53, v53, 16, 11
	s_delay_alu instid0(VALU_DEP_1) | instskip(SKIP_1) | instid1(SALU_CYCLE_1)
	v_cmp_lt_u32_e32 vcc_lo, v62, v53
	s_and_b32 s24, vcc_lo, exec_lo
	s_or_b32 s22, s22, s24
.LBB1_49:                               ;   in Loop: Header=BB1_6 Depth=2
	s_or_b32 exec_lo, exec_lo, s23
	s_and_saveexec_b32 s23, s22
; %bb.50:                               ;   in Loop: Header=BB1_6 Depth=2
	v_mov_b32_e32 v49, 6
; %bb.51:                               ;   in Loop: Header=BB1_6 Depth=2
	s_or_b32 exec_lo, exec_lo, s23
.LBB1_52:                               ;   in Loop: Header=BB1_6 Depth=2
	s_delay_alu instid0(SALU_CYCLE_1) | instskip(SKIP_4) | instid1(VALU_DEP_1)
	s_or_b32 exec_lo, exec_lo, s0
	global_load_b32 v53, v[20:21], off offset:196
	s_mov_b32 s0, exec_lo
	s_waitcnt vmcnt(0)
	v_and_b32_e32 v62, 0x78000000, v53
	v_cmpx_lt_u32_e32 0x10000000, v62
	s_cbranch_execz .LBB1_58
; %bb.53:                               ;   in Loop: Header=BB1_6 Depth=2
	v_cmp_eq_u32_e64 s22, -1, v49
	s_mov_b32 s23, exec_lo
	v_cmpx_ne_u32_e32 -1, v49
	s_cbranch_execz .LBB1_55
; %bb.54:                               ;   in Loop: Header=BB1_6 Depth=2
	v_mad_i64_i32 v[63:64], null, v49, 28, v[20:21]
	s_and_not1_b32 s22, s22, exec_lo
	global_load_b32 v63, v[63:64], off
	v_bfe_u32 v64, v53, 16, 11
	s_waitcnt vmcnt(0)
	v_bfe_u32 v63, v63, 16, 11
	s_delay_alu instid0(VALU_DEP_1) | instskip(SKIP_1) | instid1(SALU_CYCLE_1)
	v_cmp_lt_u32_e32 vcc_lo, v64, v63
	s_and_b32 s24, vcc_lo, exec_lo
	s_or_b32 s22, s22, s24
.LBB1_55:                               ;   in Loop: Header=BB1_6 Depth=2
	s_or_b32 exec_lo, exec_lo, s23
	s_and_saveexec_b32 s23, s22
; %bb.56:                               ;   in Loop: Header=BB1_6 Depth=2
	v_mov_b32_e32 v49, 7
; %bb.57:                               ;   in Loop: Header=BB1_6 Depth=2
	s_or_b32 exec_lo, exec_lo, s23
.LBB1_58:                               ;   in Loop: Header=BB1_6 Depth=2
	s_delay_alu instid0(SALU_CYCLE_1) | instskip(NEXT) | instid1(SALU_CYCLE_1)
	s_or_b32 exec_lo, exec_lo, s0
	s_mov_b32 s22, exec_lo
	s_delay_alu instid0(VALU_DEP_1)
	v_cmpx_eq_u32_e32 -1, v49
	s_cbranch_execz .LBB1_102
; %bb.59:                               ;   in Loop: Header=BB1_6 Depth=2
	v_cmp_ne_u32_e64 s24, 0x10000000, v56
	v_cmp_eq_u32_e32 vcc_lo, 0x10000000, v56
	s_mov_b32 s23, exec_lo
	s_delay_alu instid0(VALU_DEP_2)
	v_cndmask_b32_e64 v49, 0, -1, s24
	v_cmpx_eq_u32_e32 0x10000000, v55
	s_cbranch_execz .LBB1_65
; %bb.60:                               ;   in Loop: Header=BB1_6 Depth=2
                                        ; implicit-def: $sgpr25
	s_and_saveexec_b32 s0, vcc_lo
	s_cbranch_execz .LBB1_62
; %bb.61:                               ;   in Loop: Header=BB1_6 Depth=2
	v_mul_hi_i32_i24_e32 v56, 7, v49
	v_mul_i32_i24_e32 v55, 7, v49
	s_and_not1_b32 s24, s24, exec_lo
	s_mov_b32 s25, 0
	s_delay_alu instid0(VALU_DEP_1) | instskip(NEXT) | instid1(VALU_DEP_1)
	v_lshlrev_b64 v[55:56], 2, v[55:56]
	v_add_co_u32 v55, vcc_lo, v20, v55
	s_delay_alu instid0(VALU_DEP_2) | instskip(SKIP_4) | instid1(VALU_DEP_1)
	v_add_co_ci_u32_e32 v56, vcc_lo, v21, v56, vcc_lo
	global_load_b32 v49, v[55:56], off
	v_bfe_u32 v55, v8, 16, 11
	s_waitcnt vmcnt(0)
	v_bfe_u32 v49, v49, 16, 11
	v_cmp_lt_u32_e32 vcc_lo, v55, v49
	s_and_b32 s26, vcc_lo, exec_lo
	s_delay_alu instid0(SALU_CYCLE_1)
	s_or_b32 s24, s24, s26
.LBB1_62:                               ;   in Loop: Header=BB1_6 Depth=2
	s_or_b32 exec_lo, exec_lo, s0
	v_mov_b32_e32 v49, s25
	s_and_saveexec_b32 s0, s24
; %bb.63:                               ;   in Loop: Header=BB1_6 Depth=2
	v_mov_b32_e32 v49, 1
; %bb.64:                               ;   in Loop: Header=BB1_6 Depth=2
	s_or_b32 exec_lo, exec_lo, s0
.LBB1_65:                               ;   in Loop: Header=BB1_6 Depth=2
	s_delay_alu instid0(SALU_CYCLE_1) | instskip(NEXT) | instid1(SALU_CYCLE_1)
	s_or_b32 exec_lo, exec_lo, s23
	s_mov_b32 s0, exec_lo
	v_cmpx_eq_u32_e32 0x10000000, v57
	s_cbranch_execz .LBB1_71
; %bb.66:                               ;   in Loop: Header=BB1_6 Depth=2
	v_cmp_eq_u32_e64 s23, -1, v49
	s_mov_b32 s24, exec_lo
	v_cmpx_ne_u32_e32 -1, v49
	s_cbranch_execz .LBB1_68
; %bb.67:                               ;   in Loop: Header=BB1_6 Depth=2
	v_mul_hi_i32_i24_e32 v56, 7, v49
	v_mul_i32_i24_e32 v55, 7, v49
	s_and_not1_b32 s23, s23, exec_lo
	s_delay_alu instid0(VALU_DEP_1) | instskip(NEXT) | instid1(VALU_DEP_1)
	v_lshlrev_b64 v[55:56], 2, v[55:56]
	v_add_co_u32 v55, vcc_lo, v20, v55
	s_delay_alu instid0(VALU_DEP_2) | instskip(SKIP_4) | instid1(VALU_DEP_1)
	v_add_co_ci_u32_e32 v56, vcc_lo, v21, v56, vcc_lo
	global_load_b32 v55, v[55:56], off
	v_bfe_u32 v56, v9, 16, 11
	s_waitcnt vmcnt(0)
	v_bfe_u32 v55, v55, 16, 11
	v_cmp_lt_u32_e32 vcc_lo, v56, v55
	s_and_b32 s25, vcc_lo, exec_lo
	s_delay_alu instid0(SALU_CYCLE_1)
	s_or_b32 s23, s23, s25
.LBB1_68:                               ;   in Loop: Header=BB1_6 Depth=2
	s_or_b32 exec_lo, exec_lo, s24
	s_and_saveexec_b32 s24, s23
; %bb.69:                               ;   in Loop: Header=BB1_6 Depth=2
	v_mov_b32_e32 v49, 2
; %bb.70:                               ;   in Loop: Header=BB1_6 Depth=2
	s_or_b32 exec_lo, exec_lo, s24
.LBB1_71:                               ;   in Loop: Header=BB1_6 Depth=2
	s_delay_alu instid0(SALU_CYCLE_1) | instskip(NEXT) | instid1(SALU_CYCLE_1)
	s_or_b32 exec_lo, exec_lo, s0
	s_mov_b32 s0, exec_lo
	v_cmpx_eq_u32_e32 0x10000000, v58
	s_cbranch_execz .LBB1_77
; %bb.72:                               ;   in Loop: Header=BB1_6 Depth=2
	v_cmp_eq_u32_e64 s23, -1, v49
	s_mov_b32 s24, exec_lo
	v_cmpx_ne_u32_e32 -1, v49
	s_cbranch_execz .LBB1_74
; %bb.73:                               ;   in Loop: Header=BB1_6 Depth=2
	v_mul_hi_i32_i24_e32 v56, 7, v49
	v_mul_i32_i24_e32 v55, 7, v49
	s_and_not1_b32 s23, s23, exec_lo
	s_delay_alu instid0(VALU_DEP_1) | instskip(NEXT) | instid1(VALU_DEP_1)
	v_lshlrev_b64 v[55:56], 2, v[55:56]
	v_add_co_u32 v55, vcc_lo, v20, v55
	s_delay_alu instid0(VALU_DEP_2) | instskip(SKIP_4) | instid1(VALU_DEP_1)
	v_add_co_ci_u32_e32 v56, vcc_lo, v21, v56, vcc_lo
	global_load_b32 v55, v[55:56], off
	v_bfe_u32 v56, v11, 16, 11
	s_waitcnt vmcnt(0)
	v_bfe_u32 v55, v55, 16, 11
	v_cmp_lt_u32_e32 vcc_lo, v56, v55
	s_and_b32 s25, vcc_lo, exec_lo
	s_delay_alu instid0(SALU_CYCLE_1)
	s_or_b32 s23, s23, s25
.LBB1_74:                               ;   in Loop: Header=BB1_6 Depth=2
	s_or_b32 exec_lo, exec_lo, s24
	s_and_saveexec_b32 s24, s23
; %bb.75:                               ;   in Loop: Header=BB1_6 Depth=2
	v_mov_b32_e32 v49, 3
; %bb.76:                               ;   in Loop: Header=BB1_6 Depth=2
	s_or_b32 exec_lo, exec_lo, s24
.LBB1_77:                               ;   in Loop: Header=BB1_6 Depth=2
	s_delay_alu instid0(SALU_CYCLE_1) | instskip(NEXT) | instid1(SALU_CYCLE_1)
	s_or_b32 exec_lo, exec_lo, s0
	s_mov_b32 s0, exec_lo
	v_cmpx_eq_u32_e32 0x10000000, v59
	s_cbranch_execz .LBB1_83
; %bb.78:                               ;   in Loop: Header=BB1_6 Depth=2
	v_cmp_eq_u32_e64 s23, -1, v49
	s_mov_b32 s24, exec_lo
	v_cmpx_ne_u32_e32 -1, v49
	s_cbranch_execz .LBB1_80
; %bb.79:                               ;   in Loop: Header=BB1_6 Depth=2
	v_mul_hi_i32_i24_e32 v56, 7, v49
	v_mul_i32_i24_e32 v55, 7, v49
	s_and_not1_b32 s23, s23, exec_lo
	s_delay_alu instid0(VALU_DEP_1) | instskip(NEXT) | instid1(VALU_DEP_1)
	v_lshlrev_b64 v[55:56], 2, v[55:56]
	v_add_co_u32 v55, vcc_lo, v20, v55
	s_delay_alu instid0(VALU_DEP_2) | instskip(SKIP_4) | instid1(VALU_DEP_1)
	v_add_co_ci_u32_e32 v56, vcc_lo, v21, v56, vcc_lo
	global_load_b32 v55, v[55:56], off
	v_bfe_u32 v56, v24, 16, 11
	s_waitcnt vmcnt(0)
	v_bfe_u32 v55, v55, 16, 11
	v_cmp_lt_u32_e32 vcc_lo, v56, v55
	s_and_b32 s25, vcc_lo, exec_lo
	s_delay_alu instid0(SALU_CYCLE_1)
	s_or_b32 s23, s23, s25
.LBB1_80:                               ;   in Loop: Header=BB1_6 Depth=2
	s_or_b32 exec_lo, exec_lo, s24
	s_and_saveexec_b32 s24, s23
; %bb.81:                               ;   in Loop: Header=BB1_6 Depth=2
	v_mov_b32_e32 v49, 4
; %bb.82:                               ;   in Loop: Header=BB1_6 Depth=2
	s_or_b32 exec_lo, exec_lo, s24
.LBB1_83:                               ;   in Loop: Header=BB1_6 Depth=2
	s_delay_alu instid0(SALU_CYCLE_1) | instskip(NEXT) | instid1(SALU_CYCLE_1)
	s_or_b32 exec_lo, exec_lo, s0
	s_mov_b32 s0, exec_lo
	v_cmpx_eq_u32_e32 0x10000000, v60
	s_cbranch_execz .LBB1_89
; %bb.84:                               ;   in Loop: Header=BB1_6 Depth=2
	v_cmp_eq_u32_e64 s23, -1, v49
	s_mov_b32 s24, exec_lo
	v_cmpx_ne_u32_e32 -1, v49
	s_cbranch_execz .LBB1_86
; %bb.85:                               ;   in Loop: Header=BB1_6 Depth=2
	v_mul_hi_i32_i24_e32 v56, 7, v49
	v_mul_i32_i24_e32 v55, 7, v49
	s_and_not1_b32 s23, s23, exec_lo
	s_delay_alu instid0(VALU_DEP_1) | instskip(NEXT) | instid1(VALU_DEP_1)
	v_lshlrev_b64 v[55:56], 2, v[55:56]
	v_add_co_u32 v55, vcc_lo, v20, v55
	s_delay_alu instid0(VALU_DEP_2) | instskip(SKIP_4) | instid1(VALU_DEP_1)
	v_add_co_ci_u32_e32 v56, vcc_lo, v21, v56, vcc_lo
	global_load_b32 v55, v[55:56], off
	v_bfe_u32 v56, v25, 16, 11
	s_waitcnt vmcnt(0)
	v_bfe_u32 v55, v55, 16, 11
	v_cmp_lt_u32_e32 vcc_lo, v56, v55
	s_and_b32 s25, vcc_lo, exec_lo
	s_delay_alu instid0(SALU_CYCLE_1)
	s_or_b32 s23, s23, s25
.LBB1_86:                               ;   in Loop: Header=BB1_6 Depth=2
	s_or_b32 exec_lo, exec_lo, s24
	s_and_saveexec_b32 s24, s23
; %bb.87:                               ;   in Loop: Header=BB1_6 Depth=2
	v_mov_b32_e32 v49, 5
; %bb.88:                               ;   in Loop: Header=BB1_6 Depth=2
	s_or_b32 exec_lo, exec_lo, s24
.LBB1_89:                               ;   in Loop: Header=BB1_6 Depth=2
	s_delay_alu instid0(SALU_CYCLE_1) | instskip(NEXT) | instid1(SALU_CYCLE_1)
	s_or_b32 exec_lo, exec_lo, s0
	s_mov_b32 s0, exec_lo
	v_cmpx_eq_u32_e32 0x10000000, v61
	s_cbranch_execz .LBB1_95
; %bb.90:                               ;   in Loop: Header=BB1_6 Depth=2
	v_cmp_eq_u32_e64 s23, -1, v49
	s_mov_b32 s24, exec_lo
	v_cmpx_ne_u32_e32 -1, v49
	s_cbranch_execz .LBB1_92
; %bb.91:                               ;   in Loop: Header=BB1_6 Depth=2
	v_mad_i64_i32 v[55:56], null, v49, 28, v[20:21]
	s_and_not1_b32 s23, s23, exec_lo
	global_load_b32 v55, v[55:56], off
	v_bfe_u32 v56, v52, 16, 11
	s_waitcnt vmcnt(0)
	v_bfe_u32 v55, v55, 16, 11
	s_delay_alu instid0(VALU_DEP_1) | instskip(SKIP_1) | instid1(SALU_CYCLE_1)
	v_cmp_lt_u32_e32 vcc_lo, v56, v55
	s_and_b32 s25, vcc_lo, exec_lo
	s_or_b32 s23, s23, s25
.LBB1_92:                               ;   in Loop: Header=BB1_6 Depth=2
	s_or_b32 exec_lo, exec_lo, s24
	s_and_saveexec_b32 s24, s23
; %bb.93:                               ;   in Loop: Header=BB1_6 Depth=2
	v_mov_b32_e32 v49, 6
; %bb.94:                               ;   in Loop: Header=BB1_6 Depth=2
	s_or_b32 exec_lo, exec_lo, s24
.LBB1_95:                               ;   in Loop: Header=BB1_6 Depth=2
	s_delay_alu instid0(SALU_CYCLE_1) | instskip(NEXT) | instid1(SALU_CYCLE_1)
	s_or_b32 exec_lo, exec_lo, s0
	s_mov_b32 s0, exec_lo
	v_cmpx_eq_u32_e32 0x10000000, v62
	s_cbranch_execz .LBB1_101
; %bb.96:                               ;   in Loop: Header=BB1_6 Depth=2
	v_cmp_eq_u32_e64 s23, -1, v49
	s_mov_b32 s24, exec_lo
	v_cmpx_ne_u32_e32 -1, v49
	s_cbranch_execz .LBB1_98
; %bb.97:                               ;   in Loop: Header=BB1_6 Depth=2
	v_mad_i64_i32 v[55:56], null, v49, 28, v[20:21]
	s_and_not1_b32 s23, s23, exec_lo
	global_load_b32 v55, v[55:56], off
	v_bfe_u32 v56, v53, 16, 11
	s_waitcnt vmcnt(0)
	v_bfe_u32 v55, v55, 16, 11
	s_delay_alu instid0(VALU_DEP_1) | instskip(SKIP_1) | instid1(SALU_CYCLE_1)
	v_cmp_lt_u32_e32 vcc_lo, v56, v55
	s_and_b32 s25, vcc_lo, exec_lo
	s_or_b32 s23, s23, s25
.LBB1_98:                               ;   in Loop: Header=BB1_6 Depth=2
	s_or_b32 exec_lo, exec_lo, s24
	s_and_saveexec_b32 s24, s23
; %bb.99:                               ;   in Loop: Header=BB1_6 Depth=2
	v_mov_b32_e32 v49, 7
; %bb.100:                              ;   in Loop: Header=BB1_6 Depth=2
	s_or_b32 exec_lo, exec_lo, s24
.LBB1_101:                              ;   in Loop: Header=BB1_6 Depth=2
	s_delay_alu instid0(SALU_CYCLE_1)
	s_or_b32 exec_lo, exec_lo, s0
.LBB1_102:                              ;   in Loop: Header=BB1_6 Depth=2
	s_delay_alu instid0(SALU_CYCLE_1) | instskip(NEXT) | instid1(SALU_CYCLE_1)
	s_or_b32 exec_lo, exec_lo, s22
	s_mov_b32 s22, exec_lo
	v_cmpx_eq_u32_e32 -1, v49
	s_cbranch_execz .LBB1_146
; %bb.103:                              ;   in Loop: Header=BB1_6 Depth=2
	v_and_b32_e32 v49, 0x70000000, v54
	v_and_b32_e32 v54, 0x70000000, v8
	s_mov_b32 s23, exec_lo
	s_delay_alu instid0(VALU_DEP_2) | instskip(SKIP_1) | instid1(VALU_DEP_2)
	v_cmp_ne_u32_e64 s24, 0, v49
	v_cmp_eq_u32_e32 vcc_lo, 0, v49
	v_cndmask_b32_e64 v49, 0, -1, s24
	v_cmpx_eq_u32_e32 0, v54
	s_cbranch_execz .LBB1_109
; %bb.104:                              ;   in Loop: Header=BB1_6 Depth=2
                                        ; implicit-def: $sgpr25
	s_and_saveexec_b32 s0, vcc_lo
	s_cbranch_execz .LBB1_106
; %bb.105:                              ;   in Loop: Header=BB1_6 Depth=2
	v_mul_hi_i32_i24_e32 v55, 7, v49
	v_mul_i32_i24_e32 v54, 7, v49
	v_bfe_u32 v8, v8, 16, 11
	s_and_not1_b32 s24, s24, exec_lo
	s_mov_b32 s25, 0
	s_delay_alu instid0(VALU_DEP_2) | instskip(NEXT) | instid1(VALU_DEP_1)
	v_lshlrev_b64 v[54:55], 2, v[54:55]
	v_add_co_u32 v54, vcc_lo, v20, v54
	s_delay_alu instid0(VALU_DEP_2) | instskip(SKIP_3) | instid1(VALU_DEP_1)
	v_add_co_ci_u32_e32 v55, vcc_lo, v21, v55, vcc_lo
	global_load_b32 v49, v[54:55], off
	s_waitcnt vmcnt(0)
	v_bfe_u32 v49, v49, 16, 11
	v_cmp_lt_u32_e32 vcc_lo, v8, v49
	s_and_b32 s26, vcc_lo, exec_lo
	s_delay_alu instid0(SALU_CYCLE_1)
	s_or_b32 s24, s24, s26
.LBB1_106:                              ;   in Loop: Header=BB1_6 Depth=2
	s_or_b32 exec_lo, exec_lo, s0
	v_mov_b32_e32 v49, s25
	s_and_saveexec_b32 s0, s24
; %bb.107:                              ;   in Loop: Header=BB1_6 Depth=2
	v_mov_b32_e32 v49, 1
; %bb.108:                              ;   in Loop: Header=BB1_6 Depth=2
	s_or_b32 exec_lo, exec_lo, s0
.LBB1_109:                              ;   in Loop: Header=BB1_6 Depth=2
	s_delay_alu instid0(SALU_CYCLE_1) | instskip(SKIP_2) | instid1(VALU_DEP_1)
	s_or_b32 exec_lo, exec_lo, s23
	v_and_b32_e32 v8, 0x70000000, v9
	s_mov_b32 s0, exec_lo
	v_cmpx_eq_u32_e32 0, v8
	s_cbranch_execz .LBB1_115
; %bb.110:                              ;   in Loop: Header=BB1_6 Depth=2
	v_cmp_eq_u32_e64 s23, -1, v49
	s_mov_b32 s24, exec_lo
	v_cmpx_ne_u32_e32 -1, v49
	s_cbranch_execz .LBB1_112
; %bb.111:                              ;   in Loop: Header=BB1_6 Depth=2
	v_mul_hi_i32_i24_e32 v55, 7, v49
	v_mul_i32_i24_e32 v54, 7, v49
	v_bfe_u32 v9, v9, 16, 11
	s_and_not1_b32 s23, s23, exec_lo
	s_delay_alu instid0(VALU_DEP_2) | instskip(NEXT) | instid1(VALU_DEP_1)
	v_lshlrev_b64 v[54:55], 2, v[54:55]
	v_add_co_u32 v54, vcc_lo, v20, v54
	s_delay_alu instid0(VALU_DEP_2) | instskip(SKIP_3) | instid1(VALU_DEP_1)
	v_add_co_ci_u32_e32 v55, vcc_lo, v21, v55, vcc_lo
	global_load_b32 v8, v[54:55], off
	s_waitcnt vmcnt(0)
	v_bfe_u32 v8, v8, 16, 11
	v_cmp_lt_u32_e32 vcc_lo, v9, v8
	s_and_b32 s25, vcc_lo, exec_lo
	s_delay_alu instid0(SALU_CYCLE_1)
	s_or_b32 s23, s23, s25
.LBB1_112:                              ;   in Loop: Header=BB1_6 Depth=2
	s_or_b32 exec_lo, exec_lo, s24
	s_and_saveexec_b32 s24, s23
; %bb.113:                              ;   in Loop: Header=BB1_6 Depth=2
	v_mov_b32_e32 v49, 2
; %bb.114:                              ;   in Loop: Header=BB1_6 Depth=2
	s_or_b32 exec_lo, exec_lo, s24
.LBB1_115:                              ;   in Loop: Header=BB1_6 Depth=2
	s_delay_alu instid0(SALU_CYCLE_1) | instskip(SKIP_2) | instid1(VALU_DEP_1)
	s_or_b32 exec_lo, exec_lo, s0
	v_and_b32_e32 v8, 0x70000000, v11
	s_mov_b32 s0, exec_lo
	v_cmpx_eq_u32_e32 0, v8
	s_cbranch_execz .LBB1_121
; %bb.116:                              ;   in Loop: Header=BB1_6 Depth=2
	v_cmp_eq_u32_e64 s23, -1, v49
	s_mov_b32 s24, exec_lo
	v_cmpx_ne_u32_e32 -1, v49
	s_cbranch_execz .LBB1_118
; %bb.117:                              ;   in Loop: Header=BB1_6 Depth=2
	v_mul_hi_i32_i24_e32 v9, 7, v49
	v_mul_i32_i24_e32 v8, 7, v49
	s_and_not1_b32 s23, s23, exec_lo
	s_delay_alu instid0(VALU_DEP_1) | instskip(NEXT) | instid1(VALU_DEP_1)
	v_lshlrev_b64 v[8:9], 2, v[8:9]
	v_add_co_u32 v8, vcc_lo, v20, v8
	s_delay_alu instid0(VALU_DEP_2) | instskip(SKIP_4) | instid1(VALU_DEP_1)
	v_add_co_ci_u32_e32 v9, vcc_lo, v21, v9, vcc_lo
	global_load_b32 v8, v[8:9], off
	v_bfe_u32 v9, v11, 16, 11
	s_waitcnt vmcnt(0)
	v_bfe_u32 v8, v8, 16, 11
	v_cmp_lt_u32_e32 vcc_lo, v9, v8
	s_and_b32 s25, vcc_lo, exec_lo
	s_delay_alu instid0(SALU_CYCLE_1)
	s_or_b32 s23, s23, s25
.LBB1_118:                              ;   in Loop: Header=BB1_6 Depth=2
	s_or_b32 exec_lo, exec_lo, s24
	s_and_saveexec_b32 s24, s23
; %bb.119:                              ;   in Loop: Header=BB1_6 Depth=2
	v_mov_b32_e32 v49, 3
; %bb.120:                              ;   in Loop: Header=BB1_6 Depth=2
	s_or_b32 exec_lo, exec_lo, s24
.LBB1_121:                              ;   in Loop: Header=BB1_6 Depth=2
	s_delay_alu instid0(SALU_CYCLE_1) | instskip(SKIP_2) | instid1(VALU_DEP_1)
	s_or_b32 exec_lo, exec_lo, s0
	v_and_b32_e32 v8, 0x70000000, v24
	s_mov_b32 s0, exec_lo
	v_cmpx_eq_u32_e32 0, v8
	s_cbranch_execz .LBB1_127
; %bb.122:                              ;   in Loop: Header=BB1_6 Depth=2
	v_cmp_eq_u32_e64 s23, -1, v49
	s_mov_b32 s24, exec_lo
	v_cmpx_ne_u32_e32 -1, v49
	s_cbranch_execz .LBB1_124
; %bb.123:                              ;   in Loop: Header=BB1_6 Depth=2
	v_mul_hi_i32_i24_e32 v9, 7, v49
	v_mul_i32_i24_e32 v8, 7, v49
	s_and_not1_b32 s23, s23, exec_lo
	s_delay_alu instid0(VALU_DEP_1) | instskip(NEXT) | instid1(VALU_DEP_1)
	v_lshlrev_b64 v[8:9], 2, v[8:9]
	v_add_co_u32 v8, vcc_lo, v20, v8
	s_delay_alu instid0(VALU_DEP_2) | instskip(SKIP_4) | instid1(VALU_DEP_1)
	v_add_co_ci_u32_e32 v9, vcc_lo, v21, v9, vcc_lo
	global_load_b32 v8, v[8:9], off
	v_bfe_u32 v9, v24, 16, 11
	s_waitcnt vmcnt(0)
	v_bfe_u32 v8, v8, 16, 11
	v_cmp_lt_u32_e32 vcc_lo, v9, v8
	s_and_b32 s25, vcc_lo, exec_lo
	s_delay_alu instid0(SALU_CYCLE_1)
	s_or_b32 s23, s23, s25
.LBB1_124:                              ;   in Loop: Header=BB1_6 Depth=2
	s_or_b32 exec_lo, exec_lo, s24
	s_and_saveexec_b32 s24, s23
; %bb.125:                              ;   in Loop: Header=BB1_6 Depth=2
	v_mov_b32_e32 v49, 4
; %bb.126:                              ;   in Loop: Header=BB1_6 Depth=2
	s_or_b32 exec_lo, exec_lo, s24
.LBB1_127:                              ;   in Loop: Header=BB1_6 Depth=2
	;; [unrolled: 36-line block ×3, first 2 shown]
	s_delay_alu instid0(SALU_CYCLE_1) | instskip(SKIP_2) | instid1(VALU_DEP_1)
	s_or_b32 exec_lo, exec_lo, s0
	v_and_b32_e32 v8, 0x70000000, v52
	s_mov_b32 s0, exec_lo
	v_cmpx_eq_u32_e32 0, v8
	s_cbranch_execz .LBB1_139
; %bb.134:                              ;   in Loop: Header=BB1_6 Depth=2
	v_cmp_eq_u32_e64 s23, -1, v49
	s_mov_b32 s24, exec_lo
	v_cmpx_ne_u32_e32 -1, v49
	s_cbranch_execz .LBB1_136
; %bb.135:                              ;   in Loop: Header=BB1_6 Depth=2
	v_mad_i64_i32 v[8:9], null, v49, 28, v[20:21]
	s_and_not1_b32 s23, s23, exec_lo
	global_load_b32 v8, v[8:9], off
	v_bfe_u32 v9, v52, 16, 11
	s_waitcnt vmcnt(0)
	v_bfe_u32 v8, v8, 16, 11
	s_delay_alu instid0(VALU_DEP_1) | instskip(SKIP_1) | instid1(SALU_CYCLE_1)
	v_cmp_lt_u32_e32 vcc_lo, v9, v8
	s_and_b32 s25, vcc_lo, exec_lo
	s_or_b32 s23, s23, s25
.LBB1_136:                              ;   in Loop: Header=BB1_6 Depth=2
	s_or_b32 exec_lo, exec_lo, s24
	s_and_saveexec_b32 s24, s23
; %bb.137:                              ;   in Loop: Header=BB1_6 Depth=2
	v_mov_b32_e32 v49, 6
; %bb.138:                              ;   in Loop: Header=BB1_6 Depth=2
	s_or_b32 exec_lo, exec_lo, s24
.LBB1_139:                              ;   in Loop: Header=BB1_6 Depth=2
	s_delay_alu instid0(SALU_CYCLE_1) | instskip(SKIP_2) | instid1(VALU_DEP_1)
	s_or_b32 exec_lo, exec_lo, s0
	v_and_b32_e32 v8, 0x70000000, v53
	s_mov_b32 s0, exec_lo
	v_cmpx_eq_u32_e32 0, v8
	s_cbranch_execz .LBB1_145
; %bb.140:                              ;   in Loop: Header=BB1_6 Depth=2
	v_cmp_eq_u32_e64 s23, -1, v49
	s_mov_b32 s24, exec_lo
	v_cmpx_ne_u32_e32 -1, v49
	s_cbranch_execz .LBB1_142
; %bb.141:                              ;   in Loop: Header=BB1_6 Depth=2
	v_mad_i64_i32 v[8:9], null, v49, 28, v[20:21]
	s_and_not1_b32 s23, s23, exec_lo
	global_load_b32 v8, v[8:9], off
	v_bfe_u32 v9, v53, 16, 11
	s_waitcnt vmcnt(0)
	v_bfe_u32 v8, v8, 16, 11
	s_delay_alu instid0(VALU_DEP_1) | instskip(SKIP_1) | instid1(SALU_CYCLE_1)
	v_cmp_lt_u32_e32 vcc_lo, v9, v8
	s_and_b32 s25, vcc_lo, exec_lo
	s_or_b32 s23, s23, s25
.LBB1_142:                              ;   in Loop: Header=BB1_6 Depth=2
	s_or_b32 exec_lo, exec_lo, s24
	s_and_saveexec_b32 s24, s23
; %bb.143:                              ;   in Loop: Header=BB1_6 Depth=2
	v_mov_b32_e32 v49, 7
; %bb.144:                              ;   in Loop: Header=BB1_6 Depth=2
	s_or_b32 exec_lo, exec_lo, s24
.LBB1_145:                              ;   in Loop: Header=BB1_6 Depth=2
	s_delay_alu instid0(SALU_CYCLE_1)
	s_or_b32 exec_lo, exec_lo, s0
.LBB1_146:                              ;   in Loop: Header=BB1_6 Depth=2
	s_delay_alu instid0(SALU_CYCLE_1) | instskip(NEXT) | instid1(VALU_DEP_1)
	s_or_b32 exec_lo, exec_lo, s22
	v_mad_i64_i32 v[8:9], null, v49, 28, v[18:19]
	global_store_b8 v[8:9], v48, off
.LBB1_147:                              ;   in Loop: Header=BB1_6 Depth=2
	s_or_b32 exec_lo, exec_lo, s21
.LBB1_148:                              ;   in Loop: Header=BB1_6 Depth=2
	s_delay_alu instid0(SALU_CYCLE_1)
	s_or_b32 exec_lo, exec_lo, s20
.LBB1_149:                              ;   in Loop: Header=BB1_6 Depth=2
	s_delay_alu instid0(SALU_CYCLE_1)
	s_or_b32 exec_lo, exec_lo, s19
.LBB1_150:                              ;   in Loop: Header=BB1_6 Depth=2
	s_delay_alu instid0(SALU_CYCLE_1)
	s_or_b32 exec_lo, exec_lo, s18
.LBB1_151:                              ;   in Loop: Header=BB1_6 Depth=2
	s_delay_alu instid0(SALU_CYCLE_1)
	s_or_b32 exec_lo, exec_lo, s17
.LBB1_152:                              ;   in Loop: Header=BB1_6 Depth=2
	s_delay_alu instid0(SALU_CYCLE_1)
	s_or_b32 exec_lo, exec_lo, s3
.LBB1_153:                              ;   in Loop: Header=BB1_6 Depth=2
	s_delay_alu instid0(SALU_CYCLE_1)
	s_or_b32 exec_lo, exec_lo, s2
.LBB1_154:                              ;   in Loop: Header=BB1_6 Depth=2
	s_delay_alu instid0(SALU_CYCLE_1)
	s_or_b32 exec_lo, exec_lo, s1
	v_mad_i64_i32 v[24:25], null, v49, 28, v[12:13]
	v_bfe_u32 v53, v29, 27, 4
	v_bfe_u32 v52, v27, 27, 4
	s_mov_b32 s2, 0
	s_mov_b32 s1, exec_lo
                                        ; implicit-def: $sgpr0
                                        ; implicit-def: $vgpr54
	s_delay_alu instid0(VALU_DEP_1)
	v_cmpx_ge_u32_e64 v53, v52
	s_xor_b32 s1, exec_lo, s1
	s_cbranch_execz .LBB1_159
; %bb.155:                              ;   in Loop: Header=BB1_6 Depth=2
	ds_load_u16 v8, v40
	ds_load_u8 v9, v40 offset:2
	s_mov_b32 s17, 0
	s_mov_b32 s0, exec_lo
	s_clause 0x1
	scratch_store_b128 off, v[4:7], off offset:84
	scratch_store_b64 off, v[28:29], off offset:100
	s_waitcnt vmcnt(0)
	scratch_store_b8 off, v51, off offset:108
                                        ; implicit-def: $vgpr11
	s_waitcnt lgkmcnt(1)
	ds_store_b16 v43, v8
	s_waitcnt lgkmcnt(1)
	ds_store_b8 v43, v9 offset:2
	ds_store_2addr_b32 v42, v0, v1 offset1:1
	ds_store_2addr_b32 v42, v2, v3 offset0:2 offset1:3
	ds_store_2addr_b32 v42, v26, v27 offset0:4 offset1:5
	ds_store_b8 v42, v50 offset:24
                                        ; implicit-def: $vgpr8
                                        ; implicit-def: $vgpr9
	v_cmpx_ne_u32_e32 0, v52
	s_xor_b32 s0, exec_lo, s0
	s_cbranch_execz .LBB1_174
; %bb.156:                              ;   in Loop: Header=BB1_6 Depth=2
	v_dual_mov_b32 v8, 0 :: v_dual_mov_b32 v9, 1
	v_mov_b32_e32 v11, v5
	s_mov_b32 s3, exec_lo
	v_cmpx_ge_i32_e64 v5, v1
; %bb.157:                              ;   in Loop: Header=BB1_6 Depth=2
	v_cmp_le_i32_e32 vcc_lo, v5, v1
	v_dual_mov_b32 v8, 1 :: v_dual_mov_b32 v11, v1
	v_cndmask_b32_e64 v9, 0, 1, vcc_lo
; %bb.158:                              ;   in Loop: Header=BB1_6 Depth=2
	s_or_b32 exec_lo, exec_lo, s3
	s_delay_alu instid0(SALU_CYCLE_1) | instskip(SKIP_1) | instid1(SALU_CYCLE_1)
	s_mov_b32 s17, exec_lo
	s_or_saveexec_b32 s0, s0
                                        ; implicit-def: $sgpr3
	s_xor_b32 exec_lo, exec_lo, s0
	s_branch .LBB1_175
.LBB1_159:                              ;   in Loop: Header=BB1_6 Depth=2
	s_or_saveexec_b32 s3, s1
	v_mov_b32_e32 v8, s0
	s_xor_b32 exec_lo, exec_lo, s3
	s_cbranch_execz .LBB1_294
.LBB1_160:                              ;   in Loop: Header=BB1_6 Depth=2
	v_cmp_eq_u32_e32 vcc_lo, 0, v53
	v_cmp_lt_i32_e64 s0, v1, v5
	v_cmp_le_i32_e64 s1, v1, v5
	s_mov_b32 s17, 0
	s_mov_b32 s20, 0
	s_mov_b32 s19, exec_lo
	s_or_b32 s0, vcc_lo, s0
	ds_store_2addr_b32 v41, v0, v1 offset1:1
	ds_store_2addr_b32 v41, v2, v3 offset0:2 offset1:3
	ds_store_2addr_b32 v41, v26, v27 offset0:4 offset1:5
	ds_store_b8 v41, v50 offset:24
	s_or_b32 s18, s0, s1
	s_xor_b32 s1, s0, -1
	v_cndmask_b32_e64 v9, 0, 1, s18
	v_cndmask_b32_e64 v11, v5, v1, s0
	;; [unrolled: 1-line block ×3, first 2 shown]
	s_clause 0x1
	scratch_store_b128 off, v[4:7], off offset:56
	scratch_store_b64 off, v[28:29], off offset:72
	s_waitcnt vmcnt(0)
	scratch_store_b8 off, v51, off offset:80
	v_cmp_ne_u32_e32 vcc_lo, v52, v9
	global_store_b32 v[24:25], v11, off offset:4
                                        ; implicit-def: $vgpr4
	v_cmpx_ne_u32_e64 v53, v8
	s_xor_b32 s19, exec_lo, s19
	s_cbranch_execz .LBB1_191
; %bb.161:                              ;   in Loop: Header=BB1_6 Depth=2
	v_lshlrev_b32_e32 v0, 2, v8
                                        ; implicit-def: $vgpr4
	s_and_saveexec_b32 s1, vcc_lo
	s_delay_alu instid0(SALU_CYCLE_1)
	s_xor_b32 s20, exec_lo, s1
	s_cbranch_execz .LBB1_171
; %bb.162:                              ;   in Loop: Header=BB1_6 Depth=2
	v_readfirstlane_b32 s1, v32
	s_mov_b32 s21, exec_lo
                                        ; implicit-def: $vgpr4
	scratch_load_b32 v11, v0, s1
	v_lshl_add_u32 v0, v9, 2, v45
	ds_load_b32 v0, v0
	s_waitcnt vmcnt(0) lgkmcnt(0)
	v_cmpx_ge_i32_e64 v0, v11
	s_xor_b32 s21, exec_lo, s21
	s_cbranch_execz .LBB1_168
; %bb.163:                              ;   in Loop: Header=BB1_6 Depth=2
	v_cmp_le_i32_e64 s1, v0, v11
                                        ; implicit-def: $vgpr8
                                        ; implicit-def: $vgpr4
	s_delay_alu instid0(VALU_DEP_1) | instskip(NEXT) | instid1(SALU_CYCLE_1)
	s_and_saveexec_b32 s22, s1
	s_xor_b32 s1, exec_lo, s22
	s_cbranch_execz .LBB1_165
; %bb.164:                              ;   in Loop: Header=BB1_6 Depth=2
	v_cndmask_b32_e64 v4, 1, 2, s18
	v_cndmask_b32_e64 v8, 2, 1, s0
	global_store_b32 v[24:25], v0, off offset:8
                                        ; implicit-def: $vgpr11
                                        ; implicit-def: $vgpr9
.LBB1_165:                              ;   in Loop: Header=BB1_6 Depth=2
	s_and_not1_saveexec_b32 s1, s1
	s_cbranch_execz .LBB1_167
; %bb.166:                              ;   in Loop: Header=BB1_6 Depth=2
	v_cndmask_b32_e64 v8, 2, 1, s0
	v_mov_b32_e32 v4, v9
	global_store_b32 v[24:25], v11, off offset:8
.LBB1_167:                              ;   in Loop: Header=BB1_6 Depth=2
	s_or_b32 exec_lo, exec_lo, s1
                                        ; implicit-def: $vgpr0
.LBB1_168:                              ;   in Loop: Header=BB1_6 Depth=2
	s_and_not1_saveexec_b32 s1, s21
	s_cbranch_execz .LBB1_170
; %bb.169:                              ;   in Loop: Header=BB1_6 Depth=2
	v_cndmask_b32_e64 v4, 1, 2, s18
	global_store_b32 v[24:25], v0, off offset:8
.LBB1_170:                              ;   in Loop: Header=BB1_6 Depth=2
	s_or_b32 exec_lo, exec_lo, s1
                                        ; implicit-def: $vgpr0
.LBB1_171:                              ;   in Loop: Header=BB1_6 Depth=2
	s_and_not1_saveexec_b32 s1, s20
	s_cbranch_execz .LBB1_173
; %bb.172:                              ;   in Loop: Header=BB1_6 Depth=2
	v_readfirstlane_b32 s20, v32
	v_mov_b32_e32 v4, 1
	v_cndmask_b32_e64 v8, 2, 1, s0
	scratch_load_b32 v0, v0, s20
	s_waitcnt vmcnt(0)
	global_store_b32 v[24:25], v0, off offset:8
.LBB1_173:                              ;   in Loop: Header=BB1_6 Depth=2
	s_or_b32 exec_lo, exec_lo, s1
	s_delay_alu instid0(SALU_CYCLE_1) | instskip(SKIP_1) | instid1(SALU_CYCLE_1)
	s_mov_b32 s20, exec_lo
                                        ; implicit-def: $vgpr9
	s_or_saveexec_b32 s0, s19
                                        ; implicit-def: $sgpr19
	s_xor_b32 exec_lo, exec_lo, s0
	s_cbranch_execz .LBB1_195
	s_branch .LBB1_192
.LBB1_174:                              ;   in Loop: Header=BB1_6 Depth=2
	s_or_saveexec_b32 s0, s0
                                        ; implicit-def: $sgpr3
	s_delay_alu instid0(SALU_CYCLE_1)
	s_xor_b32 exec_lo, exec_lo, s0
.LBB1_175:                              ;   in Loop: Header=BB1_6 Depth=2
	v_cmp_ne_u32_e32 vcc_lo, 0, v53
	v_dual_mov_b32 v8, 0 :: v_dual_mov_b32 v9, 1
	v_mov_b32_e32 v11, v5
	s_and_not1_b32 s17, s17, exec_lo
	s_and_b32 s18, vcc_lo, exec_lo
	s_mov_b32 s2, exec_lo
	s_mov_b32 s3, 0
	s_or_b32 s17, s17, s18
; %bb.176:                              ;   in Loop: Header=BB1_6 Depth=2
	s_or_b32 exec_lo, exec_lo, s0
	v_mov_b32_e32 v55, s3
                                        ; implicit-def: $sgpr0
	s_and_saveexec_b32 s3, s17
	s_cbranch_execz .LBB1_291
; %bb.177:                              ;   in Loop: Header=BB1_6 Depth=2
	v_cmp_ne_u32_e32 vcc_lo, v9, v53
	s_mov_b32 s17, 0
	s_mov_b32 s19, 0
	s_mov_b32 s18, exec_lo
	global_store_b32 v[24:25], v11, off offset:4
                                        ; implicit-def: $vgpr11
	v_cmpx_ne_u32_e64 v8, v52
	s_xor_b32 s18, exec_lo, s18
	s_cbranch_execz .LBB1_242
; %bb.178:                              ;   in Loop: Header=BB1_6 Depth=2
	v_lshl_add_u32 v55, v8, 2, v44
                                        ; implicit-def: $vgpr11
	s_and_saveexec_b32 s0, vcc_lo
	s_delay_alu instid0(SALU_CYCLE_1)
	s_xor_b32 s19, exec_lo, s0
	s_cbranch_execz .LBB1_188
; %bb.179:                              ;   in Loop: Header=BB1_6 Depth=2
	v_lshl_add_u32 v11, v9, 2, v31
	ds_load_b32 v55, v55
	s_mov_b32 s20, exec_lo
	scratch_load_b32 v54, v11, off
                                        ; implicit-def: $vgpr11
	s_waitcnt vmcnt(0) lgkmcnt(0)
	v_cmpx_ge_i32_e64 v54, v55
	s_xor_b32 s20, exec_lo, s20
	s_cbranch_execz .LBB1_185
; %bb.180:                              ;   in Loop: Header=BB1_6 Depth=2
	v_cmp_le_i32_e64 s0, v54, v55
                                        ; implicit-def: $vgpr11
	s_delay_alu instid0(VALU_DEP_1) | instskip(NEXT) | instid1(SALU_CYCLE_1)
	s_and_saveexec_b32 s21, s0
	s_xor_b32 s0, exec_lo, s21
	s_cbranch_execz .LBB1_182
; %bb.181:                              ;   in Loop: Header=BB1_6 Depth=2
	v_add_nc_u32_e32 v11, 1, v9
	v_add_nc_u32_e32 v8, 1, v8
	global_store_b32 v[24:25], v54, off offset:8
                                        ; implicit-def: $vgpr55
                                        ; implicit-def: $vgpr9
.LBB1_182:                              ;   in Loop: Header=BB1_6 Depth=2
	s_and_not1_saveexec_b32 s0, s0
	s_cbranch_execz .LBB1_184
; %bb.183:                              ;   in Loop: Header=BB1_6 Depth=2
	v_dual_mov_b32 v11, v9 :: v_dual_add_nc_u32 v8, 1, v8
	global_store_b32 v[24:25], v55, off offset:8
.LBB1_184:                              ;   in Loop: Header=BB1_6 Depth=2
	s_or_b32 exec_lo, exec_lo, s0
                                        ; implicit-def: $vgpr9
                                        ; implicit-def: $vgpr54
.LBB1_185:                              ;   in Loop: Header=BB1_6 Depth=2
	s_and_not1_saveexec_b32 s0, s20
	s_cbranch_execz .LBB1_187
; %bb.186:                              ;   in Loop: Header=BB1_6 Depth=2
	v_add_nc_u32_e32 v11, 1, v9
	global_store_b32 v[24:25], v54, off offset:8
.LBB1_187:                              ;   in Loop: Header=BB1_6 Depth=2
	s_or_b32 exec_lo, exec_lo, s0
                                        ; implicit-def: $vgpr55
.LBB1_188:                              ;   in Loop: Header=BB1_6 Depth=2
	s_and_not1_saveexec_b32 s0, s19
	s_cbranch_execz .LBB1_190
; %bb.189:                              ;   in Loop: Header=BB1_6 Depth=2
	ds_load_b32 v9, v55
	v_dual_mov_b32 v11, v53 :: v_dual_add_nc_u32 v8, 1, v8
	s_waitcnt lgkmcnt(0)
	global_store_b32 v[24:25], v9, off offset:8
.LBB1_190:                              ;   in Loop: Header=BB1_6 Depth=2
	s_or_b32 exec_lo, exec_lo, s0
	s_delay_alu instid0(SALU_CYCLE_1) | instskip(SKIP_1) | instid1(SALU_CYCLE_1)
	s_mov_b32 s19, exec_lo
                                        ; implicit-def: $vgpr9
	s_or_saveexec_b32 s0, s18
                                        ; implicit-def: $sgpr20
	s_xor_b32 exec_lo, exec_lo, s0
	s_cbranch_execz .LBB1_246
	s_branch .LBB1_243
.LBB1_191:                              ;   in Loop: Header=BB1_6 Depth=2
	s_or_saveexec_b32 s0, s19
                                        ; implicit-def: $sgpr19
	s_delay_alu instid0(SALU_CYCLE_1)
	s_xor_b32 exec_lo, exec_lo, s0
	s_cbranch_execz .LBB1_195
.LBB1_192:                              ;   in Loop: Header=BB1_6 Depth=2
	s_mov_b32 s1, -1
	s_mov_b32 s17, s20
                                        ; implicit-def: $vgpr4
	s_and_saveexec_b32 s19, vcc_lo
	s_cbranch_execz .LBB1_194
; %bb.193:                              ;   in Loop: Header=BB1_6 Depth=2
	v_lshl_add_u32 v0, v9, 2, v45
	v_cndmask_b32_e64 v4, 1, 2, s18
	s_xor_b32 s1, exec_lo, -1
	s_or_b32 s17, s20, exec_lo
	ds_load_b32 v0, v0
	s_waitcnt lgkmcnt(0)
	global_store_b32 v[24:25], v0, off offset:8
.LBB1_194:                              ;   in Loop: Header=BB1_6 Depth=2
	s_or_b32 exec_lo, exec_lo, s19
	v_mov_b32_e32 v8, v53
	s_and_not1_b32 s18, s20, exec_lo
	s_and_b32 s20, s17, exec_lo
	s_brev_b32 s19, 16
	s_and_b32 s17, s1, exec_lo
	s_or_b32 s20, s18, s20
.LBB1_195:                              ;   in Loop: Header=BB1_6 Depth=2
	s_or_b32 exec_lo, exec_lo, s0
	v_mov_b32_e32 v9, s19
                                        ; implicit-def: $sgpr0
	s_and_saveexec_b32 s1, s20
	s_cbranch_execz .LBB1_239
; %bb.196:                              ;   in Loop: Header=BB1_6 Depth=2
	v_cmp_ne_u32_e32 vcc_lo, v4, v52
	s_mov_b32 s20, 0
	s_mov_b32 s18, exec_lo
                                        ; implicit-def: $vgpr0
	v_cmpx_ne_u32_e64 v8, v53
	s_xor_b32 s18, exec_lo, s18
	s_cbranch_execz .LBB1_210
; %bb.197:                              ;   in Loop: Header=BB1_6 Depth=2
	v_lshl_add_u32 v9, v8, 2, v32
                                        ; implicit-def: $vgpr0
	s_and_saveexec_b32 s0, vcc_lo
	s_delay_alu instid0(SALU_CYCLE_1)
	s_xor_b32 s19, exec_lo, s0
	s_cbranch_execz .LBB1_207
; %bb.198:                              ;   in Loop: Header=BB1_6 Depth=2
	scratch_load_b32 v11, v9, off
	v_lshl_add_u32 v0, v4, 2, v45
	s_mov_b32 s20, exec_lo
	ds_load_b32 v9, v0
                                        ; implicit-def: $vgpr0
	s_waitcnt vmcnt(0) lgkmcnt(0)
	v_cmpx_ge_i32_e64 v9, v11
	s_xor_b32 s20, exec_lo, s20
	s_cbranch_execz .LBB1_204
; %bb.199:                              ;   in Loop: Header=BB1_6 Depth=2
	v_cmp_le_i32_e64 s0, v9, v11
                                        ; implicit-def: $vgpr0
	s_delay_alu instid0(VALU_DEP_1) | instskip(NEXT) | instid1(SALU_CYCLE_1)
	s_and_saveexec_b32 s21, s0
	s_xor_b32 s0, exec_lo, s21
	s_cbranch_execz .LBB1_201
; %bb.200:                              ;   in Loop: Header=BB1_6 Depth=2
	v_add_nc_u32_e32 v0, 1, v4
	v_add_nc_u32_e32 v8, 1, v8
	global_store_b32 v[24:25], v9, off offset:12
                                        ; implicit-def: $vgpr11
                                        ; implicit-def: $vgpr4
.LBB1_201:                              ;   in Loop: Header=BB1_6 Depth=2
	s_and_not1_saveexec_b32 s0, s0
	s_cbranch_execz .LBB1_203
; %bb.202:                              ;   in Loop: Header=BB1_6 Depth=2
	v_add_nc_u32_e32 v8, 1, v8
	v_mov_b32_e32 v0, v4
	global_store_b32 v[24:25], v11, off offset:12
.LBB1_203:                              ;   in Loop: Header=BB1_6 Depth=2
	s_or_b32 exec_lo, exec_lo, s0
                                        ; implicit-def: $vgpr4
                                        ; implicit-def: $vgpr9
.LBB1_204:                              ;   in Loop: Header=BB1_6 Depth=2
	s_and_not1_saveexec_b32 s0, s20
	s_cbranch_execz .LBB1_206
; %bb.205:                              ;   in Loop: Header=BB1_6 Depth=2
	v_add_nc_u32_e32 v0, 1, v4
	global_store_b32 v[24:25], v9, off offset:12
.LBB1_206:                              ;   in Loop: Header=BB1_6 Depth=2
	s_or_b32 exec_lo, exec_lo, s0
                                        ; implicit-def: $vgpr9
.LBB1_207:                              ;   in Loop: Header=BB1_6 Depth=2
	s_and_not1_saveexec_b32 s0, s19
	s_cbranch_execz .LBB1_209
; %bb.208:                              ;   in Loop: Header=BB1_6 Depth=2
	scratch_load_b32 v4, v9, off
	v_add_nc_u32_e32 v8, 1, v8
	v_mov_b32_e32 v0, v52
	s_waitcnt vmcnt(0)
	global_store_b32 v[24:25], v4, off offset:12
.LBB1_209:                              ;   in Loop: Header=BB1_6 Depth=2
	s_or_b32 exec_lo, exec_lo, s0
	s_delay_alu instid0(SALU_CYCLE_1)
	s_mov_b32 s20, exec_lo
                                        ; implicit-def: $vgpr4
.LBB1_210:                              ;   in Loop: Header=BB1_6 Depth=2
	s_or_saveexec_b32 s0, s18
	s_mov_b32 s18, s17
                                        ; implicit-def: $sgpr19
	s_xor_b32 exec_lo, exec_lo, s0
	s_cbranch_execz .LBB1_214
; %bb.211:                              ;   in Loop: Header=BB1_6 Depth=2
	s_mov_b32 s21, -1
	s_mov_b32 s18, s20
                                        ; implicit-def: $vgpr0
	s_and_saveexec_b32 s19, vcc_lo
	s_cbranch_execz .LBB1_213
; %bb.212:                              ;   in Loop: Header=BB1_6 Depth=2
	v_lshl_add_u32 v0, v4, 2, v45
	s_xor_b32 s21, exec_lo, -1
	s_or_b32 s18, s20, exec_lo
	ds_load_b32 v8, v0
	v_add_nc_u32_e32 v0, 1, v4
	s_waitcnt lgkmcnt(0)
	global_store_b32 v[24:25], v8, off offset:12
.LBB1_213:                              ;   in Loop: Header=BB1_6 Depth=2
	s_or_b32 exec_lo, exec_lo, s19
	v_mov_b32_e32 v8, v53
	s_and_not1_b32 s22, s17, exec_lo
	s_and_b32 s21, s21, exec_lo
	s_and_not1_b32 s20, s20, exec_lo
	s_and_b32 s23, s18, exec_lo
	s_brev_b32 s19, 8
	s_or_b32 s18, s22, s21
	s_or_b32 s20, s20, s23
.LBB1_214:                              ;   in Loop: Header=BB1_6 Depth=2
	s_or_b32 exec_lo, exec_lo, s0
	v_mov_b32_e32 v9, s19
                                        ; implicit-def: $sgpr0
	s_and_saveexec_b32 s19, s20
	s_cbranch_execz .LBB1_238
; %bb.215:                              ;   in Loop: Header=BB1_6 Depth=2
	v_cmp_ne_u32_e32 vcc_lo, v0, v52
	s_mov_b32 s21, 0
	s_mov_b32 s20, exec_lo
                                        ; implicit-def: $vgpr4
	v_cmpx_ne_u32_e64 v8, v53
	s_xor_b32 s20, exec_lo, s20
	s_cbranch_execz .LBB1_229
; %bb.216:                              ;   in Loop: Header=BB1_6 Depth=2
	v_lshl_add_u32 v9, v8, 2, v32
                                        ; implicit-def: $vgpr4
	s_and_saveexec_b32 s0, vcc_lo
	s_delay_alu instid0(SALU_CYCLE_1)
	s_xor_b32 s21, exec_lo, s0
	s_cbranch_execz .LBB1_226
; %bb.217:                              ;   in Loop: Header=BB1_6 Depth=2
	scratch_load_b32 v11, v9, off
	v_lshl_add_u32 v4, v0, 2, v45
	s_mov_b32 s22, exec_lo
	ds_load_b32 v9, v4
                                        ; implicit-def: $vgpr4
	s_waitcnt vmcnt(0) lgkmcnt(0)
	v_cmpx_ge_i32_e64 v9, v11
	s_xor_b32 s22, exec_lo, s22
	s_cbranch_execz .LBB1_223
; %bb.218:                              ;   in Loop: Header=BB1_6 Depth=2
	v_cmp_le_i32_e64 s0, v9, v11
                                        ; implicit-def: $vgpr4
	s_delay_alu instid0(VALU_DEP_1) | instskip(NEXT) | instid1(SALU_CYCLE_1)
	s_and_saveexec_b32 s23, s0
	s_xor_b32 s0, exec_lo, s23
	s_cbranch_execz .LBB1_220
; %bb.219:                              ;   in Loop: Header=BB1_6 Depth=2
	v_add_nc_u32_e32 v4, 1, v0
	v_add_nc_u32_e32 v8, 1, v8
	global_store_b32 v[24:25], v9, off offset:16
                                        ; implicit-def: $vgpr11
                                        ; implicit-def: $vgpr0
.LBB1_220:                              ;   in Loop: Header=BB1_6 Depth=2
	s_and_not1_saveexec_b32 s0, s0
	s_cbranch_execz .LBB1_222
; %bb.221:                              ;   in Loop: Header=BB1_6 Depth=2
	v_add_nc_u32_e32 v8, 1, v8
	v_mov_b32_e32 v4, v0
	global_store_b32 v[24:25], v11, off offset:16
.LBB1_222:                              ;   in Loop: Header=BB1_6 Depth=2
	s_or_b32 exec_lo, exec_lo, s0
                                        ; implicit-def: $vgpr0
                                        ; implicit-def: $vgpr9
.LBB1_223:                              ;   in Loop: Header=BB1_6 Depth=2
	s_and_not1_saveexec_b32 s0, s22
	s_cbranch_execz .LBB1_225
; %bb.224:                              ;   in Loop: Header=BB1_6 Depth=2
	v_add_nc_u32_e32 v4, 1, v0
	global_store_b32 v[24:25], v9, off offset:16
.LBB1_225:                              ;   in Loop: Header=BB1_6 Depth=2
	s_or_b32 exec_lo, exec_lo, s0
                                        ; implicit-def: $vgpr9
.LBB1_226:                              ;   in Loop: Header=BB1_6 Depth=2
	s_and_not1_saveexec_b32 s0, s21
	s_cbranch_execz .LBB1_228
; %bb.227:                              ;   in Loop: Header=BB1_6 Depth=2
	scratch_load_b32 v0, v9, off
	v_add_nc_u32_e32 v8, 1, v8
	v_mov_b32_e32 v4, v52
	s_waitcnt vmcnt(0)
	global_store_b32 v[24:25], v0, off offset:16
.LBB1_228:                              ;   in Loop: Header=BB1_6 Depth=2
	s_or_b32 exec_lo, exec_lo, s0
	s_delay_alu instid0(SALU_CYCLE_1)
	s_mov_b32 s21, exec_lo
                                        ; implicit-def: $vgpr0
.LBB1_229:                              ;   in Loop: Header=BB1_6 Depth=2
	s_or_saveexec_b32 s0, s20
	s_mov_b32 s20, s18
                                        ; implicit-def: $sgpr22
	s_xor_b32 exec_lo, exec_lo, s0
	s_cbranch_execz .LBB1_233
; %bb.230:                              ;   in Loop: Header=BB1_6 Depth=2
	s_mov_b32 s23, -1
	s_mov_b32 s20, s21
                                        ; implicit-def: $vgpr4
	s_and_saveexec_b32 s22, vcc_lo
	s_cbranch_execz .LBB1_232
; %bb.231:                              ;   in Loop: Header=BB1_6 Depth=2
	v_lshl_add_u32 v4, v0, 2, v45
	s_xor_b32 s23, exec_lo, -1
	s_or_b32 s20, s21, exec_lo
	ds_load_b32 v8, v4
	v_add_nc_u32_e32 v4, 1, v0
	s_waitcnt lgkmcnt(0)
	global_store_b32 v[24:25], v8, off offset:16
.LBB1_232:                              ;   in Loop: Header=BB1_6 Depth=2
	s_or_b32 exec_lo, exec_lo, s22
	v_mov_b32_e32 v8, v53
	s_and_not1_b32 s24, s18, exec_lo
	s_and_b32 s23, s23, exec_lo
	s_and_not1_b32 s21, s21, exec_lo
	s_and_b32 s25, s20, exec_lo
	s_brev_b32 s22, 24
	s_or_b32 s20, s24, s23
	s_or_b32 s21, s21, s25
.LBB1_233:                              ;   in Loop: Header=BB1_6 Depth=2
	s_or_b32 exec_lo, exec_lo, s0
	v_mov_b32_e32 v9, s22
                                        ; implicit-def: $sgpr0
	s_and_saveexec_b32 s22, s21
	s_cbranch_execz .LBB1_237
; %bb.234:                              ;   in Loop: Header=BB1_6 Depth=2
	v_cmp_lt_u32_e32 vcc_lo, v4, v52
	v_cmp_lt_u32_e64 s0, v8, v53
	s_mov_b32 s21, -1
	s_delay_alu instid0(VALU_DEP_1) | instskip(NEXT) | instid1(SALU_CYCLE_1)
	s_or_b32 s24, vcc_lo, s0
                                        ; implicit-def: $sgpr0
	s_and_saveexec_b32 s23, s24
; %bb.235:                              ;   in Loop: Header=BB1_6 Depth=2
	s_mov_b32 s0, 7
	s_xor_b32 s21, exec_lo, -1
; %bb.236:                              ;   in Loop: Header=BB1_6 Depth=2
	s_or_b32 exec_lo, exec_lo, s23
	v_bfrev_b32_e32 v9, 4
	s_and_not1_b32 s20, s20, exec_lo
	s_and_b32 s21, s21, exec_lo
	s_delay_alu instid0(SALU_CYCLE_1)
	s_or_b32 s20, s20, s21
.LBB1_237:                              ;   in Loop: Header=BB1_6 Depth=2
	s_or_b32 exec_lo, exec_lo, s22
	s_delay_alu instid0(SALU_CYCLE_1) | instskip(SKIP_1) | instid1(SALU_CYCLE_1)
	s_and_not1_b32 s18, s18, exec_lo
	s_and_b32 s20, s20, exec_lo
	s_or_b32 s18, s18, s20
.LBB1_238:                              ;   in Loop: Header=BB1_6 Depth=2
	s_or_b32 exec_lo, exec_lo, s19
	s_delay_alu instid0(SALU_CYCLE_1) | instskip(SKIP_1) | instid1(SALU_CYCLE_1)
	s_and_not1_b32 s17, s17, exec_lo
	s_and_b32 s18, s18, exec_lo
	s_or_b32 s17, s17, s18
.LBB1_239:                              ;   in Loop: Header=BB1_6 Depth=2
	s_or_b32 exec_lo, exec_lo, s1
	s_mov_b32 s1, s2
                                        ; implicit-def: $vgpr54
	s_and_saveexec_b32 s18, s17
	s_cbranch_execz .LBB1_241
; %bb.240:                              ;   in Loop: Header=BB1_6 Depth=2
	global_load_b32 v0, v[24:25], off offset:20
	s_or_b32 s1, s2, exec_lo
	s_waitcnt vmcnt(0)
	v_and_or_b32 v54, 0x87ffffff, v0, v9
	global_store_b32 v[24:25], v54, off offset:20
.LBB1_241:                              ;   in Loop: Header=BB1_6 Depth=2
	s_or_b32 exec_lo, exec_lo, s18
	v_mov_b32_e32 v8, s0
	s_and_not1_b32 s0, s2, exec_lo
	s_and_b32 s1, s1, exec_lo
	s_delay_alu instid0(SALU_CYCLE_1)
	s_or_b32 s2, s0, s1
	s_or_b32 exec_lo, exec_lo, s3
	s_and_saveexec_b32 s17, s2
	s_cbranch_execz .LBB1_526
	s_branch .LBB1_295
.LBB1_242:                              ;   in Loop: Header=BB1_6 Depth=2
	s_or_saveexec_b32 s0, s18
                                        ; implicit-def: $sgpr20
	s_delay_alu instid0(SALU_CYCLE_1)
	s_xor_b32 exec_lo, exec_lo, s0
	s_cbranch_execz .LBB1_246
.LBB1_243:                              ;   in Loop: Header=BB1_6 Depth=2
	s_mov_b32 s17, -1
	s_mov_b32 s18, s19
                                        ; implicit-def: $vgpr11
	s_and_saveexec_b32 s20, vcc_lo
	s_cbranch_execz .LBB1_245
; %bb.244:                              ;   in Loop: Header=BB1_6 Depth=2
	v_lshl_add_u32 v8, v9, 2, v31
	v_add_nc_u32_e32 v11, 1, v9
	s_xor_b32 s17, exec_lo, -1
	s_or_b32 s18, s19, exec_lo
	scratch_load_b32 v8, v8, off
	s_waitcnt vmcnt(0)
	global_store_b32 v[24:25], v8, off offset:8
.LBB1_245:                              ;   in Loop: Header=BB1_6 Depth=2
	s_or_b32 exec_lo, exec_lo, s20
	v_mov_b32_e32 v8, v52
	s_and_not1_b32 s19, s19, exec_lo
	s_and_b32 s18, s18, exec_lo
	s_brev_b32 s20, 16
	s_and_b32 s17, s17, exec_lo
	s_or_b32 s19, s19, s18
.LBB1_246:                              ;   in Loop: Header=BB1_6 Depth=2
	s_or_b32 exec_lo, exec_lo, s0
	v_mov_b32_e32 v55, s20
                                        ; implicit-def: $sgpr0
	s_and_saveexec_b32 s18, s19
	s_cbranch_execz .LBB1_290
; %bb.247:                              ;   in Loop: Header=BB1_6 Depth=2
	v_cmp_ne_u32_e32 vcc_lo, v11, v53
	s_mov_b32 s21, 0
	s_mov_b32 s19, exec_lo
                                        ; implicit-def: $vgpr9
	v_cmpx_ne_u32_e64 v8, v52
	s_xor_b32 s19, exec_lo, s19
	s_cbranch_execz .LBB1_261
; %bb.248:                              ;   in Loop: Header=BB1_6 Depth=2
	v_lshl_add_u32 v55, v8, 2, v44
                                        ; implicit-def: $vgpr9
	s_and_saveexec_b32 s0, vcc_lo
	s_delay_alu instid0(SALU_CYCLE_1)
	s_xor_b32 s20, exec_lo, s0
	s_cbranch_execz .LBB1_258
; %bb.249:                              ;   in Loop: Header=BB1_6 Depth=2
	v_lshl_add_u32 v9, v11, 2, v31
	ds_load_b32 v55, v55
	s_mov_b32 s21, exec_lo
	scratch_load_b32 v54, v9, off
                                        ; implicit-def: $vgpr9
	s_waitcnt vmcnt(0) lgkmcnt(0)
	v_cmpx_ge_i32_e64 v54, v55
	s_xor_b32 s21, exec_lo, s21
	s_cbranch_execz .LBB1_255
; %bb.250:                              ;   in Loop: Header=BB1_6 Depth=2
	v_cmp_le_i32_e64 s0, v54, v55
                                        ; implicit-def: $vgpr9
	s_delay_alu instid0(VALU_DEP_1) | instskip(NEXT) | instid1(SALU_CYCLE_1)
	s_and_saveexec_b32 s22, s0
	s_xor_b32 s0, exec_lo, s22
	s_cbranch_execz .LBB1_252
; %bb.251:                              ;   in Loop: Header=BB1_6 Depth=2
	v_add_nc_u32_e32 v9, 1, v11
	v_add_nc_u32_e32 v8, 1, v8
	global_store_b32 v[24:25], v54, off offset:12
                                        ; implicit-def: $vgpr55
                                        ; implicit-def: $vgpr11
.LBB1_252:                              ;   in Loop: Header=BB1_6 Depth=2
	s_and_not1_saveexec_b32 s0, s0
	s_cbranch_execz .LBB1_254
; %bb.253:                              ;   in Loop: Header=BB1_6 Depth=2
	v_dual_mov_b32 v9, v11 :: v_dual_add_nc_u32 v8, 1, v8
	global_store_b32 v[24:25], v55, off offset:12
.LBB1_254:                              ;   in Loop: Header=BB1_6 Depth=2
	s_or_b32 exec_lo, exec_lo, s0
                                        ; implicit-def: $vgpr11
                                        ; implicit-def: $vgpr54
.LBB1_255:                              ;   in Loop: Header=BB1_6 Depth=2
	s_and_not1_saveexec_b32 s0, s21
	s_cbranch_execz .LBB1_257
; %bb.256:                              ;   in Loop: Header=BB1_6 Depth=2
	v_add_nc_u32_e32 v9, 1, v11
	global_store_b32 v[24:25], v54, off offset:12
.LBB1_257:                              ;   in Loop: Header=BB1_6 Depth=2
	s_or_b32 exec_lo, exec_lo, s0
                                        ; implicit-def: $vgpr55
.LBB1_258:                              ;   in Loop: Header=BB1_6 Depth=2
	s_and_not1_saveexec_b32 s0, s20
	s_cbranch_execz .LBB1_260
; %bb.259:                              ;   in Loop: Header=BB1_6 Depth=2
	ds_load_b32 v11, v55
	v_dual_mov_b32 v9, v53 :: v_dual_add_nc_u32 v8, 1, v8
	s_waitcnt lgkmcnt(0)
	global_store_b32 v[24:25], v11, off offset:12
.LBB1_260:                              ;   in Loop: Header=BB1_6 Depth=2
	s_or_b32 exec_lo, exec_lo, s0
	s_delay_alu instid0(SALU_CYCLE_1)
	s_mov_b32 s21, exec_lo
                                        ; implicit-def: $vgpr11
.LBB1_261:                              ;   in Loop: Header=BB1_6 Depth=2
	s_or_saveexec_b32 s0, s19
	s_mov_b32 s19, s17
                                        ; implicit-def: $sgpr20
	s_xor_b32 exec_lo, exec_lo, s0
	s_cbranch_execz .LBB1_265
; %bb.262:                              ;   in Loop: Header=BB1_6 Depth=2
	s_mov_b32 s22, -1
	s_mov_b32 s19, s21
                                        ; implicit-def: $vgpr9
	s_and_saveexec_b32 s20, vcc_lo
	s_cbranch_execz .LBB1_264
; %bb.263:                              ;   in Loop: Header=BB1_6 Depth=2
	v_lshl_add_u32 v8, v11, 2, v31
	v_add_nc_u32_e32 v9, 1, v11
	s_xor_b32 s22, exec_lo, -1
	s_or_b32 s19, s21, exec_lo
	scratch_load_b32 v8, v8, off
	s_waitcnt vmcnt(0)
	global_store_b32 v[24:25], v8, off offset:12
.LBB1_264:                              ;   in Loop: Header=BB1_6 Depth=2
	s_or_b32 exec_lo, exec_lo, s20
	v_mov_b32_e32 v8, v52
	s_and_not1_b32 s23, s17, exec_lo
	s_and_b32 s22, s22, exec_lo
	s_and_not1_b32 s21, s21, exec_lo
	s_and_b32 s24, s19, exec_lo
	s_brev_b32 s20, 8
	s_or_b32 s19, s23, s22
	s_or_b32 s21, s21, s24
.LBB1_265:                              ;   in Loop: Header=BB1_6 Depth=2
	s_or_b32 exec_lo, exec_lo, s0
	v_mov_b32_e32 v55, s20
                                        ; implicit-def: $sgpr0
	s_and_saveexec_b32 s20, s21
	s_cbranch_execz .LBB1_289
; %bb.266:                              ;   in Loop: Header=BB1_6 Depth=2
	v_cmp_ne_u32_e32 vcc_lo, v9, v53
	s_mov_b32 s22, 0
	s_mov_b32 s21, exec_lo
                                        ; implicit-def: $vgpr11
	v_cmpx_ne_u32_e64 v8, v52
	s_xor_b32 s21, exec_lo, s21
	s_cbranch_execz .LBB1_280
; %bb.267:                              ;   in Loop: Header=BB1_6 Depth=2
	v_lshl_add_u32 v55, v8, 2, v44
                                        ; implicit-def: $vgpr11
	s_and_saveexec_b32 s0, vcc_lo
	s_delay_alu instid0(SALU_CYCLE_1)
	s_xor_b32 s22, exec_lo, s0
	s_cbranch_execz .LBB1_277
; %bb.268:                              ;   in Loop: Header=BB1_6 Depth=2
	v_lshl_add_u32 v11, v9, 2, v31
	ds_load_b32 v55, v55
	s_mov_b32 s23, exec_lo
	scratch_load_b32 v54, v11, off
                                        ; implicit-def: $vgpr11
	s_waitcnt vmcnt(0) lgkmcnt(0)
	v_cmpx_ge_i32_e64 v54, v55
	s_xor_b32 s23, exec_lo, s23
	s_cbranch_execz .LBB1_274
; %bb.269:                              ;   in Loop: Header=BB1_6 Depth=2
	v_cmp_le_i32_e64 s0, v54, v55
                                        ; implicit-def: $vgpr11
	s_delay_alu instid0(VALU_DEP_1) | instskip(NEXT) | instid1(SALU_CYCLE_1)
	s_and_saveexec_b32 s24, s0
	s_xor_b32 s0, exec_lo, s24
	s_cbranch_execz .LBB1_271
; %bb.270:                              ;   in Loop: Header=BB1_6 Depth=2
	v_add_nc_u32_e32 v11, 1, v9
	v_add_nc_u32_e32 v8, 1, v8
	global_store_b32 v[24:25], v54, off offset:16
                                        ; implicit-def: $vgpr55
                                        ; implicit-def: $vgpr9
.LBB1_271:                              ;   in Loop: Header=BB1_6 Depth=2
	s_and_not1_saveexec_b32 s0, s0
	s_cbranch_execz .LBB1_273
; %bb.272:                              ;   in Loop: Header=BB1_6 Depth=2
	v_dual_mov_b32 v11, v9 :: v_dual_add_nc_u32 v8, 1, v8
	global_store_b32 v[24:25], v55, off offset:16
.LBB1_273:                              ;   in Loop: Header=BB1_6 Depth=2
	s_or_b32 exec_lo, exec_lo, s0
                                        ; implicit-def: $vgpr9
                                        ; implicit-def: $vgpr54
.LBB1_274:                              ;   in Loop: Header=BB1_6 Depth=2
	s_and_not1_saveexec_b32 s0, s23
	s_cbranch_execz .LBB1_276
; %bb.275:                              ;   in Loop: Header=BB1_6 Depth=2
	v_add_nc_u32_e32 v11, 1, v9
	global_store_b32 v[24:25], v54, off offset:16
.LBB1_276:                              ;   in Loop: Header=BB1_6 Depth=2
	s_or_b32 exec_lo, exec_lo, s0
                                        ; implicit-def: $vgpr55
.LBB1_277:                              ;   in Loop: Header=BB1_6 Depth=2
	s_and_not1_saveexec_b32 s0, s22
	s_cbranch_execz .LBB1_279
; %bb.278:                              ;   in Loop: Header=BB1_6 Depth=2
	ds_load_b32 v9, v55
	v_dual_mov_b32 v11, v53 :: v_dual_add_nc_u32 v8, 1, v8
	s_waitcnt lgkmcnt(0)
	global_store_b32 v[24:25], v9, off offset:16
.LBB1_279:                              ;   in Loop: Header=BB1_6 Depth=2
	s_or_b32 exec_lo, exec_lo, s0
	s_delay_alu instid0(SALU_CYCLE_1)
	s_mov_b32 s22, exec_lo
                                        ; implicit-def: $vgpr9
.LBB1_280:                              ;   in Loop: Header=BB1_6 Depth=2
	s_or_saveexec_b32 s0, s21
	s_mov_b32 s21, s19
                                        ; implicit-def: $sgpr23
	s_xor_b32 exec_lo, exec_lo, s0
	s_cbranch_execz .LBB1_284
; %bb.281:                              ;   in Loop: Header=BB1_6 Depth=2
	s_mov_b32 s24, -1
	s_mov_b32 s21, s22
                                        ; implicit-def: $vgpr11
	s_and_saveexec_b32 s23, vcc_lo
	s_cbranch_execz .LBB1_283
; %bb.282:                              ;   in Loop: Header=BB1_6 Depth=2
	v_lshl_add_u32 v8, v9, 2, v31
	v_add_nc_u32_e32 v11, 1, v9
	s_xor_b32 s24, exec_lo, -1
	s_or_b32 s21, s22, exec_lo
	scratch_load_b32 v8, v8, off
	s_waitcnt vmcnt(0)
	global_store_b32 v[24:25], v8, off offset:16
.LBB1_283:                              ;   in Loop: Header=BB1_6 Depth=2
	s_or_b32 exec_lo, exec_lo, s23
	v_mov_b32_e32 v8, v52
	s_and_not1_b32 s25, s19, exec_lo
	s_and_b32 s24, s24, exec_lo
	s_and_not1_b32 s22, s22, exec_lo
	s_and_b32 s26, s21, exec_lo
	s_brev_b32 s23, 24
	s_or_b32 s21, s25, s24
	s_or_b32 s22, s22, s26
.LBB1_284:                              ;   in Loop: Header=BB1_6 Depth=2
	s_or_b32 exec_lo, exec_lo, s0
	v_mov_b32_e32 v55, s23
                                        ; implicit-def: $sgpr0
	s_and_saveexec_b32 s23, s22
	s_cbranch_execz .LBB1_288
; %bb.285:                              ;   in Loop: Header=BB1_6 Depth=2
	v_cmp_lt_u32_e32 vcc_lo, v11, v53
	v_cmp_lt_u32_e64 s0, v8, v52
	s_mov_b32 s22, -1
	s_delay_alu instid0(VALU_DEP_1) | instskip(NEXT) | instid1(SALU_CYCLE_1)
	s_or_b32 s25, vcc_lo, s0
                                        ; implicit-def: $sgpr0
	s_and_saveexec_b32 s24, s25
; %bb.286:                              ;   in Loop: Header=BB1_6 Depth=2
	s_mov_b32 s0, 7
	s_xor_b32 s22, exec_lo, -1
; %bb.287:                              ;   in Loop: Header=BB1_6 Depth=2
	s_or_b32 exec_lo, exec_lo, s24
	v_bfrev_b32_e32 v55, 4
	s_and_not1_b32 s21, s21, exec_lo
	s_and_b32 s22, s22, exec_lo
	s_delay_alu instid0(SALU_CYCLE_1)
	s_or_b32 s21, s21, s22
.LBB1_288:                              ;   in Loop: Header=BB1_6 Depth=2
	s_or_b32 exec_lo, exec_lo, s23
	s_delay_alu instid0(SALU_CYCLE_1) | instskip(SKIP_1) | instid1(SALU_CYCLE_1)
	s_and_not1_b32 s19, s19, exec_lo
	s_and_b32 s21, s21, exec_lo
	s_or_b32 s19, s19, s21
.LBB1_289:                              ;   in Loop: Header=BB1_6 Depth=2
	s_or_b32 exec_lo, exec_lo, s20
	s_delay_alu instid0(SALU_CYCLE_1) | instskip(SKIP_1) | instid1(SALU_CYCLE_1)
	s_and_not1_b32 s17, s17, exec_lo
	s_and_b32 s19, s19, exec_lo
	s_or_b32 s17, s17, s19
.LBB1_290:                              ;   in Loop: Header=BB1_6 Depth=2
	s_or_b32 exec_lo, exec_lo, s18
	s_delay_alu instid0(SALU_CYCLE_1) | instskip(SKIP_1) | instid1(SALU_CYCLE_1)
	s_and_not1_b32 s2, s2, exec_lo
	s_and_b32 s17, s17, exec_lo
	s_or_b32 s2, s2, s17
.LBB1_291:                              ;   in Loop: Header=BB1_6 Depth=2
	s_or_b32 exec_lo, exec_lo, s3
	s_mov_b32 s3, 0
                                        ; implicit-def: $vgpr54
	s_and_saveexec_b32 s17, s2
	s_cbranch_execz .LBB1_293
; %bb.292:                              ;   in Loop: Header=BB1_6 Depth=2
	global_load_b32 v8, v[24:25], off offset:20
	s_mov_b32 s3, exec_lo
	s_waitcnt vmcnt(0)
	v_and_or_b32 v54, 0x87ffffff, v8, v55
	global_store_b32 v[24:25], v54, off offset:20
.LBB1_293:                              ;   in Loop: Header=BB1_6 Depth=2
	s_or_b32 exec_lo, exec_lo, s17
	s_delay_alu instid0(SALU_CYCLE_1)
	s_and_b32 s2, s3, exec_lo
	s_or_saveexec_b32 s3, s1
	v_mov_b32_e32 v8, s0
	s_xor_b32 exec_lo, exec_lo, s3
	s_cbranch_execnz .LBB1_160
.LBB1_294:                              ;   in Loop: Header=BB1_6 Depth=2
	s_or_b32 exec_lo, exec_lo, s3
	s_and_saveexec_b32 s17, s2
	s_cbranch_execz .LBB1_526
.LBB1_295:                              ;   in Loop: Header=BB1_6 Depth=2
	v_bfe_u32 v4, v54, 27, 4
	s_mov_b32 s18, 0
	s_mov_b32 s21, -1
	s_mov_b32 s25, 0
	s_clause 0x1
	global_store_b32 v[24:25], v10, off
	global_store_b8 v[24:25], v30, off offset:24
	v_cmp_ne_u32_e32 vcc_lo, 0, v4
                                        ; implicit-def: $sgpr20
                                        ; implicit-def: $sgpr19
                                        ; implicit-def: $sgpr22
                                        ; implicit-def: $sgpr24
                                        ; implicit-def: $sgpr23
	s_branch .LBB1_297
.LBB1_296:                              ;   in Loop: Header=BB1_297 Depth=3
	s_or_b32 exec_lo, exec_lo, s3
	s_delay_alu instid0(SALU_CYCLE_1) | instskip(NEXT) | instid1(SALU_CYCLE_1)
	s_and_b32 s0, exec_lo, s2
	s_or_b32 s18, s0, s18
	s_and_not1_b32 s0, s22, exec_lo
	s_and_b32 s2, s23, exec_lo
	s_and_not1_b32 s3, s19, exec_lo
	s_or_b32 s22, s0, s2
	s_and_b32 s0, s1, exec_lo
	s_and_not1_b32 s1, s20, exec_lo
	s_and_b32 s2, s24, exec_lo
	s_or_b32 s19, s3, s0
	s_or_b32 s20, s1, s2
	s_and_not1_b32 exec_lo, exec_lo, s18
	s_cbranch_execz .LBB1_332
.LBB1_297:                              ;   Parent Loop BB1_3 Depth=1
                                        ;     Parent Loop BB1_6 Depth=2
                                        ; =>    This Loop Header: Depth=3
                                        ;         Child Loop BB1_304 Depth 4
                                        ;           Child Loop BB1_306 Depth 5
                                        ;         Child Loop BB1_318 Depth 4
                                        ;           Child Loop BB1_320 Depth 5
	v_cmp_eq_u32_e64 s0, s25, v49
	s_mov_b32 s26, exec_lo
                                        ; implicit-def: $sgpr28
	v_cmpx_ne_u32_e64 s25, v49
	s_cbranch_execz .LBB1_330
; %bb.298:                              ;   in Loop: Header=BB1_297 Depth=3
	v_mad_u64_u32 v[8:9], null, s25, 28, v[12:13]
	s_mov_b32 s2, -1
	s_mov_b32 s27, exec_lo
                                        ; implicit-def: $sgpr28
	global_load_u8 v11, v[8:9], off offset:24
	s_waitcnt vmcnt(0)
	v_and_b32_e32 v0, 1, v11
	s_delay_alu instid0(VALU_DEP_1)
	v_cmpx_eq_u32_e32 1, v0
	s_cbranch_execz .LBB1_329
; %bb.299:                              ;   in Loop: Header=BB1_297 Depth=3
	s_clause 0x1
	global_load_b32 v55, v[8:9], off offset:20
	global_load_b32 v57, v[8:9], off
	s_mov_b32 s29, 0
                                        ; implicit-def: $sgpr28
	s_mov_b32 s2, exec_lo
	s_waitcnt vmcnt(1)
	v_bfe_u32 v0, v55, 27, 4
	s_waitcnt vmcnt(0)
	v_and_b32_e32 v56, v10, v57
	s_delay_alu instid0(VALU_DEP_2)
	v_cmpx_le_u32_e64 v0, v4
	s_xor_b32 s30, exec_lo, s2
	s_cbranch_execz .LBB1_313
; %bb.300:                              ;   in Loop: Header=BB1_297 Depth=3
	s_mov_b32 s2, -1
	s_mov_b32 s29, exec_lo
                                        ; implicit-def: $sgpr28
	v_cmpx_eq_u32_e64 v56, v57
	s_cbranch_execz .LBB1_312
; %bb.301:                              ;   in Loop: Header=BB1_297 Depth=3
	s_clause 0x2
	global_load_b128 v[56:59], v[24:25], off
	global_load_b96 v[64:66], v[24:25], off offset:16
	global_load_b128 v[60:63], v[8:9], off offset:4
	v_mov_b32_e32 v8, 1
	s_mov_b32 s28, exec_lo
	s_waitcnt vmcnt(2)
	scratch_store_b128 off, v[56:59], off offset:28
	s_waitcnt vmcnt(1)
	s_clause 0x1
	scratch_store_b32 off, v64, off offset:44
	scratch_store_b64 off, v[65:66], off offset:48
	s_waitcnt vmcnt(0)
	s_clause 0x2
	scratch_store_b128 off, v[60:63], off offset:4
	scratch_store_b32 off, v55, off offset:20
	scratch_store_b8 off, v11, off offset:24
	v_cmpx_ne_u32_e32 0, v0
	s_cbranch_execz .LBB1_311
; %bb.302:                              ;   in Loop: Header=BB1_297 Depth=3
	scratch_load_b32 v8, off, off offset:48
	s_mov_b32 s36, 0
	s_mov_b32 s31, 0
	;; [unrolled: 1-line block ×3, first 2 shown]
                                        ; implicit-def: $sgpr34
                                        ; implicit-def: $sgpr35
	s_waitcnt vmcnt(0)
	v_bfe_u32 v8, v8, 27, 4
	s_delay_alu instid0(VALU_DEP_1)
	v_cmp_ne_u32_e64 s1, 0, v8
	s_branch .LBB1_304
.LBB1_303:                              ;   in Loop: Header=BB1_304 Depth=4
	s_or_b32 exec_lo, exec_lo, s37
	s_delay_alu instid0(SALU_CYCLE_1) | instskip(NEXT) | instid1(SALU_CYCLE_1)
	s_and_b32 s2, exec_lo, s3
	s_or_b32 s31, s2, s31
	s_and_not1_b32 s2, s34, exec_lo
	s_and_b32 s3, s35, exec_lo
	s_delay_alu instid0(SALU_CYCLE_1)
	s_or_b32 s34, s2, s3
	s_and_not1_b32 exec_lo, exec_lo, s31
	s_cbranch_execz .LBB1_310
.LBB1_304:                              ;   Parent Loop BB1_3 Depth=1
                                        ;     Parent Loop BB1_6 Depth=2
                                        ;       Parent Loop BB1_297 Depth=3
                                        ; =>      This Loop Header: Depth=4
                                        ;           Child Loop BB1_306 Depth 5
	v_mov_b32_e32 v9, 0
	s_delay_alu instid0(VALU_DEP_2)
	s_and_saveexec_b32 s37, s1
	s_cbranch_execz .LBB1_308
; %bb.305:                              ;   in Loop: Header=BB1_304 Depth=4
	s_lshl_b32 s2, s33, 2
	v_mov_b32_e32 v55, v8
	v_dual_mov_b32 v56, v34 :: v_dual_add_nc_u32 v9, s2, v33
	s_mov_b32 s38, 0
	scratch_load_b32 v11, v9, off
	v_mov_b32_e32 v9, 0
.LBB1_306:                              ;   Parent Loop BB1_3 Depth=1
                                        ;     Parent Loop BB1_6 Depth=2
                                        ;       Parent Loop BB1_297 Depth=3
                                        ;         Parent Loop BB1_304 Depth=4
                                        ; =>        This Inner Loop Header: Depth=5
	scratch_load_b32 v57, v56, off
	v_add_nc_u32_e32 v55, -1, v55
	v_add_nc_u32_e32 v56, 4, v56
	s_delay_alu instid0(VALU_DEP_2) | instskip(NEXT) | instid1(VALU_DEP_1)
	v_cmp_eq_u32_e64 s2, 0, v55
	s_or_b32 s38, s2, s38
	s_waitcnt vmcnt(0)
	v_cmp_ne_u32_e64 s3, v57, v11
	s_delay_alu instid0(VALU_DEP_1)
	v_cndmask_b32_e64 v9, 1, v9, s3
	s_and_not1_b32 exec_lo, exec_lo, s38
	s_cbranch_execnz .LBB1_306
; %bb.307:                              ;   in Loop: Header=BB1_304 Depth=4
	s_or_b32 exec_lo, exec_lo, s38
.LBB1_308:                              ;   in Loop: Header=BB1_304 Depth=4
	s_delay_alu instid0(SALU_CYCLE_1) | instskip(NEXT) | instid1(SALU_CYCLE_1)
	s_or_b32 exec_lo, exec_lo, s37
	s_and_not1_b32 s35, s35, exec_lo
	s_and_b32 s36, s36, exec_lo
	s_mov_b32 s3, -1
	s_or_b32 s35, s35, s36
	s_mov_b32 s37, exec_lo
                                        ; implicit-def: $sgpr36
	v_cmpx_ne_u32_e32 0, v9
	s_cbranch_execz .LBB1_303
; %bb.309:                              ;   in Loop: Header=BB1_304 Depth=4
	s_add_i32 s33, s33, 1
	s_and_not1_b32 s35, s35, exec_lo
	v_cmp_ge_u32_e64 s2, s33, v0
	v_cmp_eq_u32_e64 s3, s33, v0
	s_delay_alu instid0(VALU_DEP_2) | instskip(NEXT) | instid1(VALU_DEP_1)
	s_and_b32 s36, s2, exec_lo
	s_or_not1_b32 s3, s3, exec_lo
	s_or_b32 s35, s35, s36
	s_branch .LBB1_303
.LBB1_310:                              ;   in Loop: Header=BB1_297 Depth=3
	s_or_b32 exec_lo, exec_lo, s31
	v_cndmask_b32_e64 v8, 0, 1, s34
.LBB1_311:                              ;   in Loop: Header=BB1_297 Depth=3
	s_or_b32 exec_lo, exec_lo, s28
	s_delay_alu instid0(VALU_DEP_1) | instskip(SKIP_1) | instid1(VALU_DEP_1)
	v_cmp_eq_u32_e64 s1, 0, v8
	s_mov_b32 s28, -1
	s_or_not1_b32 s2, s1, exec_lo
.LBB1_312:                              ;   in Loop: Header=BB1_297 Depth=3
	s_or_b32 exec_lo, exec_lo, s29
	s_delay_alu instid0(SALU_CYCLE_1)
	s_and_b32 s29, s2, exec_lo
                                        ; implicit-def: $vgpr56
                                        ; implicit-def: $vgpr8_vgpr9
.LBB1_313:                              ;   in Loop: Header=BB1_297 Depth=3
	s_and_not1_saveexec_b32 s30, s30
	s_cbranch_execz .LBB1_328
; %bb.314:                              ;   in Loop: Header=BB1_297 Depth=3
	s_mov_b32 s31, exec_lo
	v_cmpx_eq_u32_e64 v56, v10
	s_cbranch_execz .LBB1_327
; %bb.315:                              ;   in Loop: Header=BB1_297 Depth=3
	s_clause 0x3
	global_load_b128 v[55:58], v[8:9], off
	global_load_b96 v[63:65], v[8:9], off offset:16
	global_load_b128 v[59:62], v[24:25], off offset:4
	global_load_u8 v11, v[24:25], off offset:24
	v_mov_b32_e32 v0, 1
	s_waitcnt vmcnt(3)
	scratch_store_b128 off, v[55:58], off offset:28
	s_waitcnt vmcnt(2)
	s_clause 0x1
	scratch_store_b32 off, v63, off offset:44
	scratch_store_b64 off, v[64:65], off offset:48
	s_waitcnt vmcnt(1)
	s_clause 0x1
	scratch_store_b128 off, v[59:62], off offset:4
	scratch_store_b32 off, v54, off offset:20
	s_waitcnt vmcnt(0)
	scratch_store_b8 off, v11, off offset:24
	s_and_saveexec_b32 s33, vcc_lo
	s_cbranch_execz .LBB1_325
; %bb.316:                              ;   in Loop: Header=BB1_297 Depth=3
	scratch_load_b32 v0, off, off offset:48
	s_mov_b32 s38, 0
	s_mov_b32 s34, 0
	;; [unrolled: 1-line block ×3, first 2 shown]
                                        ; implicit-def: $sgpr36
                                        ; implicit-def: $sgpr37
	s_waitcnt vmcnt(0)
	v_bfe_u32 v0, v0, 27, 4
	s_delay_alu instid0(VALU_DEP_1)
	v_cmp_ne_u32_e64 s1, 0, v0
	s_branch .LBB1_318
.LBB1_317:                              ;   in Loop: Header=BB1_318 Depth=4
	s_or_b32 exec_lo, exec_lo, s39
	s_delay_alu instid0(SALU_CYCLE_1) | instskip(NEXT) | instid1(SALU_CYCLE_1)
	s_and_b32 s2, exec_lo, s3
	s_or_b32 s34, s2, s34
	s_and_not1_b32 s2, s36, exec_lo
	s_and_b32 s3, s37, exec_lo
	s_delay_alu instid0(SALU_CYCLE_1)
	s_or_b32 s36, s2, s3
	s_and_not1_b32 exec_lo, exec_lo, s34
	s_cbranch_execz .LBB1_324
.LBB1_318:                              ;   Parent Loop BB1_3 Depth=1
                                        ;     Parent Loop BB1_6 Depth=2
                                        ;       Parent Loop BB1_297 Depth=3
                                        ; =>      This Loop Header: Depth=4
                                        ;           Child Loop BB1_320 Depth 5
	v_mov_b32_e32 v11, 0
	s_delay_alu instid0(VALU_DEP_2)
	s_and_saveexec_b32 s39, s1
	s_cbranch_execz .LBB1_322
; %bb.319:                              ;   in Loop: Header=BB1_318 Depth=4
	s_lshl_b32 s2, s35, 2
	v_mov_b32_e32 v57, v37
	v_dual_mov_b32 v56, v0 :: v_dual_add_nc_u32 v11, s2, v33
	s_mov_b32 s40, 0
	scratch_load_b32 v55, v11, off
	v_mov_b32_e32 v11, 0
.LBB1_320:                              ;   Parent Loop BB1_3 Depth=1
                                        ;     Parent Loop BB1_6 Depth=2
                                        ;       Parent Loop BB1_297 Depth=3
                                        ;         Parent Loop BB1_318 Depth=4
                                        ; =>        This Inner Loop Header: Depth=5
	scratch_load_b32 v58, v57, off
	v_add_nc_u32_e32 v56, -1, v56
	v_add_nc_u32_e32 v57, 4, v57
	s_delay_alu instid0(VALU_DEP_2) | instskip(NEXT) | instid1(VALU_DEP_1)
	v_cmp_eq_u32_e64 s2, 0, v56
	s_or_b32 s40, s2, s40
	s_waitcnt vmcnt(0)
	v_cmp_ne_u32_e64 s3, v58, v55
	s_delay_alu instid0(VALU_DEP_1)
	v_cndmask_b32_e64 v11, 1, v11, s3
	s_and_not1_b32 exec_lo, exec_lo, s40
	s_cbranch_execnz .LBB1_320
; %bb.321:                              ;   in Loop: Header=BB1_318 Depth=4
	s_or_b32 exec_lo, exec_lo, s40
.LBB1_322:                              ;   in Loop: Header=BB1_318 Depth=4
	s_delay_alu instid0(SALU_CYCLE_1) | instskip(NEXT) | instid1(SALU_CYCLE_1)
	s_or_b32 exec_lo, exec_lo, s39
	s_and_not1_b32 s37, s37, exec_lo
	s_and_b32 s38, s38, exec_lo
	s_mov_b32 s3, -1
	s_or_b32 s37, s37, s38
	s_mov_b32 s39, exec_lo
                                        ; implicit-def: $sgpr38
	v_cmpx_ne_u32_e32 0, v11
	s_cbranch_execz .LBB1_317
; %bb.323:                              ;   in Loop: Header=BB1_318 Depth=4
	s_add_i32 s35, s35, 1
	s_and_not1_b32 s37, s37, exec_lo
	v_cmp_ge_u32_e64 s2, s35, v4
	v_cmp_eq_u32_e64 s3, s35, v4
	s_delay_alu instid0(VALU_DEP_2) | instskip(NEXT) | instid1(VALU_DEP_1)
	s_and_b32 s38, s2, exec_lo
	s_or_not1_b32 s3, s3, exec_lo
	s_or_b32 s37, s37, s38
	s_branch .LBB1_317
.LBB1_324:                              ;   in Loop: Header=BB1_297 Depth=3
	s_or_b32 exec_lo, exec_lo, s34
	v_cndmask_b32_e64 v0, 0, 1, s36
.LBB1_325:                              ;   in Loop: Header=BB1_297 Depth=3
	s_or_b32 exec_lo, exec_lo, s33
	s_delay_alu instid0(VALU_DEP_1) | instskip(NEXT) | instid1(VALU_DEP_1)
	v_cmp_ne_u32_e64 s1, 0, v0
	s_and_b32 exec_lo, exec_lo, s1
	s_cbranch_execz .LBB1_327
; %bb.326:                              ;   in Loop: Header=BB1_297 Depth=3
	global_store_b8 v[8:9], v48, off offset:24
.LBB1_327:                              ;   in Loop: Header=BB1_297 Depth=3
	s_or_b32 exec_lo, exec_lo, s31
	s_delay_alu instid0(SALU_CYCLE_1)
	s_or_b32 s29, s29, exec_lo
.LBB1_328:                              ;   in Loop: Header=BB1_297 Depth=3
	s_or_b32 exec_lo, exec_lo, s30
	s_delay_alu instid0(SALU_CYCLE_1)
	s_or_not1_b32 s2, s29, exec_lo
.LBB1_329:                              ;   in Loop: Header=BB1_297 Depth=3
	s_or_b32 exec_lo, exec_lo, s27
	s_delay_alu instid0(SALU_CYCLE_1) | instskip(SKIP_1) | instid1(SALU_CYCLE_1)
	s_and_not1_b32 s0, s0, exec_lo
	s_and_b32 s1, s2, exec_lo
	s_or_b32 s0, s0, s1
.LBB1_330:                              ;   in Loop: Header=BB1_297 Depth=3
	s_or_b32 exec_lo, exec_lo, s26
	s_delay_alu instid0(SALU_CYCLE_1)
	s_and_not1_b32 s1, s23, exec_lo
	s_and_b32 s3, s28, exec_lo
	s_and_not1_b32 s24, s24, exec_lo
	s_and_b32 s26, s21, exec_lo
	s_mov_b32 s2, -1
	s_or_b32 s23, s1, s3
	s_or_b32 s24, s24, s26
                                        ; implicit-def: $sgpr1
	s_and_saveexec_b32 s3, s0
	s_cbranch_execz .LBB1_296
; %bb.331:                              ;   in Loop: Header=BB1_297 Depth=3
	s_add_i32 s0, s25, 1
	s_cmp_lt_u32 s25, 7
	s_mov_b32 s25, s0
	s_cselect_b32 s1, -1, 0
	s_cmp_eq_u32 s0, 8
	s_cselect_b32 s2, -1, 0
	s_and_not1_b32 s24, s24, exec_lo
	s_and_b32 s21, s21, exec_lo
	s_and_not1_b32 s23, s23, exec_lo
	s_or_b32 s24, s24, s21
	s_or_not1_b32 s2, s2, exec_lo
	s_mov_b32 s21, s1
	s_branch .LBB1_296
.LBB1_332:                              ;   in Loop: Header=BB1_6 Depth=2
	s_or_b32 exec_lo, exec_lo, s18
	s_and_saveexec_b32 s0, s22
	s_delay_alu instid0(SALU_CYCLE_1)
	s_xor_b32 s0, exec_lo, s0
	s_cbranch_execz .LBB1_334
; %bb.333:                              ;   in Loop: Header=BB1_6 Depth=2
	s_and_not1_b32 s1, s19, exec_lo
	s_and_b32 s2, s20, exec_lo
	global_store_b8 v[24:25], v48, off offset:24
	s_or_b32 s19, s1, s2
.LBB1_334:                              ;   in Loop: Header=BB1_6 Depth=2
	s_or_b32 exec_lo, exec_lo, s0
	v_mov_b32_e32 v8, 7
	s_xor_b32 s0, s19, -1
	s_delay_alu instid0(SALU_CYCLE_1)
	s_and_saveexec_b32 s18, s0
	s_cbranch_execz .LBB1_525
; %bb.335:                              ;   in Loop: Header=BB1_6 Depth=2
	s_clause 0x1
	global_load_b128 v[8:11], v[24:25], off offset:4
	global_load_u8 v56, v[24:25], off offset:24
	global_load_b32 v57, v[14:15], off offset:4
	global_load_b32 v55, v[16:17], off offset:4
	v_dual_mov_b32 v58, v5 :: v_dual_mov_b32 v59, v6
	v_dual_mov_b32 v60, v7 :: v_dual_mov_b32 v61, v28
	v_mov_b32_e32 v0, 0
	s_clause 0x1
	scratch_store_b128 off, v[58:61], off offset:4
	scratch_store_b32 off, v29, off offset:20
	s_waitcnt vmcnt(4)
	scratch_store_b8 off, v51, off offset:24
	s_waitcnt vmcnt(3)
	s_clause 0x1
	scratch_store_b128 off, v[8:11], off offset:32
	scratch_store_b32 off, v54, off offset:48
	s_waitcnt vmcnt(2)
	scratch_store_b8 off, v56, off offset:52
	s_and_saveexec_b32 s2, vcc_lo
	s_cbranch_execz .LBB1_343
; %bb.336:                              ;   in Loop: Header=BB1_6 Depth=2
	v_cmp_ne_u32_e64 s0, 0, v53
	v_mov_b32_e32 v0, 0
	s_mov_b32 s3, 0
	s_mov_b32 s19, 0
	s_set_inst_prefetch_distance 0x1
	s_branch .LBB1_338
	.p2align	6
.LBB1_337:                              ;   in Loop: Header=BB1_338 Depth=3
	s_or_b32 exec_lo, exec_lo, s20
	s_add_i32 s19, s19, 1
	s_delay_alu instid0(SALU_CYCLE_1) | instskip(NEXT) | instid1(VALU_DEP_1)
	v_cmp_eq_u32_e64 s1, s19, v4
	s_or_b32 s3, s1, s3
	s_delay_alu instid0(SALU_CYCLE_1)
	s_and_not1_b32 exec_lo, exec_lo, s3
	s_cbranch_execz .LBB1_342
.LBB1_338:                              ;   Parent Loop BB1_3 Depth=1
                                        ;     Parent Loop BB1_6 Depth=2
                                        ; =>    This Loop Header: Depth=3
                                        ;         Child Loop BB1_340 Depth 4
	s_and_saveexec_b32 s20, s0
	s_cbranch_execz .LBB1_337
; %bb.339:                              ;   in Loop: Header=BB1_338 Depth=3
	s_lshl_b32 s1, s19, 2
	v_mov_b32_e32 v7, v33
	v_dual_mov_b32 v6, v53 :: v_dual_add_nc_u32 v5, s1, v34
	s_lshl_b32 s22, 1, s19
	s_mov_b32 s21, 0
	scratch_load_b32 v5, v5, off
.LBB1_340:                              ;   Parent Loop BB1_3 Depth=1
                                        ;     Parent Loop BB1_6 Depth=2
                                        ;       Parent Loop BB1_338 Depth=3
                                        ; =>      This Inner Loop Header: Depth=4
	scratch_load_b32 v28, v7, off
	v_add_nc_u32_e32 v6, -1, v6
	v_add_nc_u32_e32 v7, 4, v7
	s_waitcnt vmcnt(0)
	v_cmp_eq_u32_e64 s1, v28, v5
	s_delay_alu instid0(VALU_DEP_1) | instskip(SKIP_1) | instid1(VALU_DEP_2)
	v_cndmask_b32_e64 v28, 0, s22, s1
	v_cmp_eq_u32_e64 s1, 0, v6
	v_or_b32_e32 v0, v28, v0
	s_delay_alu instid0(VALU_DEP_2) | instskip(NEXT) | instid1(SALU_CYCLE_1)
	s_or_b32 s21, s1, s21
	s_and_not1_b32 exec_lo, exec_lo, s21
	s_cbranch_execnz .LBB1_340
; %bb.341:                              ;   in Loop: Header=BB1_338 Depth=3
	s_or_b32 exec_lo, exec_lo, s21
	s_branch .LBB1_337
.LBB1_342:                              ;   in Loop: Header=BB1_6 Depth=2
	s_set_inst_prefetch_distance 0x2
	s_or_b32 exec_lo, exec_lo, s3
.LBB1_343:                              ;   in Loop: Header=BB1_6 Depth=2
	s_delay_alu instid0(SALU_CYCLE_1)
	s_or_b32 exec_lo, exec_lo, s2
	s_waitcnt vmcnt(1)
	v_cmp_ne_u32_e64 s0, 0, v57
	v_and_b32_e32 v7, 8, v0
	v_add_nc_u32_e32 v5, -1, v53
	s_mov_b32 s1, exec_lo
	s_delay_alu instid0(VALU_DEP_3) | instskip(NEXT) | instid1(VALU_DEP_1)
	v_cndmask_b32_e64 v6, 0, -1, s0
	v_xor_b32_e32 v6, v29, v6
	v_cmpx_ne_u32_e32 0, v7
	s_cbranch_execz .LBB1_359
; %bb.344:                              ;   in Loop: Header=BB1_6 Depth=2
	s_mov_b32 s2, exec_lo
	v_cmpx_gt_u32_e32 4, v53
	s_cbranch_execz .LBB1_358
; %bb.345:                              ;   in Loop: Header=BB1_6 Depth=2
	s_mov_b32 s3, 0
	s_branch .LBB1_348
.LBB1_346:                              ;   in Loop: Header=BB1_348 Depth=3
	s_or_b32 exec_lo, exec_lo, s20
.LBB1_347:                              ;   in Loop: Header=BB1_348 Depth=3
	s_delay_alu instid0(SALU_CYCLE_1) | instskip(SKIP_2) | instid1(VALU_DEP_2)
	s_or_b32 exec_lo, exec_lo, s19
	v_add_nc_u32_e32 v7, 1, v5
	v_cmp_lt_i32_e64 s0, 1, v5
	v_mov_b32_e32 v5, v7
	s_delay_alu instid0(VALU_DEP_2) | instskip(NEXT) | instid1(SALU_CYCLE_1)
	s_or_b32 s3, s0, s3
	s_and_not1_b32 exec_lo, exec_lo, s3
	s_cbranch_execz .LBB1_357
.LBB1_348:                              ;   Parent Loop BB1_3 Depth=1
                                        ;     Parent Loop BB1_6 Depth=2
                                        ; =>    This Inner Loop Header: Depth=3
	v_mov_b32_e32 v7, v6
	s_mov_b32 s19, exec_lo
	v_cmpx_lt_i32_e32 0, v5
	s_xor_b32 s19, exec_lo, s19
	s_cbranch_execz .LBB1_354
; %bb.349:                              ;   in Loop: Header=BB1_348 Depth=3
	v_cmp_lt_i32_e64 s0, 1, v5
	s_delay_alu instid0(VALU_DEP_1) | instskip(NEXT) | instid1(SALU_CYCLE_1)
	s_and_saveexec_b32 s20, s0
	s_xor_b32 s0, exec_lo, s20
; %bb.350:                              ;   in Loop: Header=BB1_348 Depth=3
	v_lshlrev_b32_e32 v7, 4, v6
	v_lshrrev_b32_e32 v28, 4, v6
	v_and_b32_e32 v6, 0xf00ff00f, v6
	s_delay_alu instid0(VALU_DEP_3) | instskip(NEXT) | instid1(VALU_DEP_3)
	v_and_b32_e32 v7, 0xf000f00, v7
	v_and_b32_e32 v28, 0xf000f0, v28
	s_delay_alu instid0(VALU_DEP_1)
	v_or3_b32 v6, v7, v6, v28
; %bb.351:                              ;   in Loop: Header=BB1_348 Depth=3
	s_and_not1_saveexec_b32 s0, s0
; %bb.352:                              ;   in Loop: Header=BB1_348 Depth=3
	s_delay_alu instid0(VALU_DEP_1) | instskip(SKIP_2) | instid1(VALU_DEP_3)
	v_lshlrev_b32_e32 v7, 2, v6
	v_lshrrev_b32_e32 v28, 2, v6
	v_and_b32_e32 v6, 0xc3c3c3c3, v6
	v_and_b32_e32 v7, 0x30303030, v7
	s_delay_alu instid0(VALU_DEP_3) | instskip(NEXT) | instid1(VALU_DEP_1)
	v_and_b32_e32 v28, 0xc0c0c0c, v28
	v_or3_b32 v6, v7, v6, v28
; %bb.353:                              ;   in Loop: Header=BB1_348 Depth=3
	s_or_b32 exec_lo, exec_lo, s0
                                        ; implicit-def: $vgpr7
.LBB1_354:                              ;   in Loop: Header=BB1_348 Depth=3
	s_and_not1_saveexec_b32 s19, s19
	s_cbranch_execz .LBB1_347
; %bb.355:                              ;   in Loop: Header=BB1_348 Depth=3
	v_mov_b32_e32 v6, 0
	s_mov_b32 s20, exec_lo
	v_cmpx_eq_u32_e32 0, v5
	s_cbranch_execz .LBB1_346
; %bb.356:                              ;   in Loop: Header=BB1_348 Depth=3
	v_lshlrev_b32_e32 v6, 1, v7
	v_lshrrev_b32_e32 v28, 1, v7
	v_and_b32_e32 v7, 0x99999999, v7
	s_delay_alu instid0(VALU_DEP_3) | instskip(NEXT) | instid1(VALU_DEP_3)
	v_and_b32_e32 v6, 0x44444444, v6
	v_and_b32_e32 v28, 0x22222222, v28
	s_delay_alu instid0(VALU_DEP_1)
	v_or3_b32 v6, v6, v7, v28
	s_branch .LBB1_346
.LBB1_357:                              ;   in Loop: Header=BB1_6 Depth=2
	s_or_b32 exec_lo, exec_lo, s3
.LBB1_358:                              ;   in Loop: Header=BB1_6 Depth=2
	s_delay_alu instid0(SALU_CYCLE_1)
	s_or_b32 exec_lo, exec_lo, s2
	v_add_nc_u32_e32 v5, -2, v53
.LBB1_359:                              ;   in Loop: Header=BB1_6 Depth=2
	s_or_b32 exec_lo, exec_lo, s1
	v_and_b32_e32 v7, 4, v0
	s_mov_b32 s1, exec_lo
	s_delay_alu instid0(VALU_DEP_1)
	v_cmpx_ne_u32_e32 0, v7
	s_cbranch_execz .LBB1_371
; %bb.360:                              ;   in Loop: Header=BB1_6 Depth=2
	s_mov_b32 s2, exec_lo
	v_cmpx_gt_i32_e32 2, v5
	s_cbranch_execz .LBB1_370
; %bb.361:                              ;   in Loop: Header=BB1_6 Depth=2
	v_mov_b32_e32 v7, v5
	s_mov_b32 s3, 0
	s_set_inst_prefetch_distance 0x1
	s_branch .LBB1_364
	.p2align	6
.LBB1_362:                              ;   in Loop: Header=BB1_364 Depth=3
	s_or_b32 exec_lo, exec_lo, s20
.LBB1_363:                              ;   in Loop: Header=BB1_364 Depth=3
	s_delay_alu instid0(SALU_CYCLE_1) | instskip(SKIP_2) | instid1(VALU_DEP_2)
	s_or_b32 exec_lo, exec_lo, s19
	v_add_nc_u32_e32 v28, 1, v7
	v_cmp_lt_i32_e64 s0, 0, v7
	v_mov_b32_e32 v7, v28
	s_delay_alu instid0(VALU_DEP_2) | instskip(NEXT) | instid1(SALU_CYCLE_1)
	s_or_b32 s3, s0, s3
	s_and_not1_b32 exec_lo, exec_lo, s3
	s_cbranch_execz .LBB1_369
.LBB1_364:                              ;   Parent Loop BB1_3 Depth=1
                                        ;     Parent Loop BB1_6 Depth=2
                                        ; =>    This Inner Loop Header: Depth=3
	s_delay_alu instid0(VALU_DEP_1) | instskip(SKIP_1) | instid1(VALU_DEP_2)
	v_cmp_lt_i32_e64 s0, 0, v7
	v_mov_b32_e32 v28, v6
	s_and_saveexec_b32 s19, s0
	s_delay_alu instid0(SALU_CYCLE_1)
	s_xor_b32 s0, exec_lo, s19
; %bb.365:                              ;   in Loop: Header=BB1_364 Depth=3
	v_lshlrev_b32_e32 v28, 2, v6
	v_lshrrev_b32_e32 v29, 2, v6
	v_and_b32_e32 v6, 0xc3c3c3c3, v6
	s_delay_alu instid0(VALU_DEP_3) | instskip(NEXT) | instid1(VALU_DEP_3)
	v_and_b32_e32 v28, 0x30303030, v28
	v_and_b32_e32 v29, 0xc0c0c0c, v29
	s_delay_alu instid0(VALU_DEP_1)
	v_or3_b32 v6, v28, v6, v29
                                        ; implicit-def: $vgpr28
; %bb.366:                              ;   in Loop: Header=BB1_364 Depth=3
	s_and_not1_saveexec_b32 s19, s0
	s_cbranch_execz .LBB1_363
; %bb.367:                              ;   in Loop: Header=BB1_364 Depth=3
	v_mov_b32_e32 v6, 0
	s_mov_b32 s20, exec_lo
	v_cmpx_eq_u32_e32 0, v7
	s_cbranch_execz .LBB1_362
; %bb.368:                              ;   in Loop: Header=BB1_364 Depth=3
	v_lshlrev_b32_e32 v6, 1, v28
	v_lshrrev_b32_e32 v29, 1, v28
	v_and_b32_e32 v28, 0x99999999, v28
	s_delay_alu instid0(VALU_DEP_3) | instskip(NEXT) | instid1(VALU_DEP_3)
	v_and_b32_e32 v6, 0x44444444, v6
	v_and_b32_e32 v29, 0x22222222, v29
	s_delay_alu instid0(VALU_DEP_1)
	v_or3_b32 v6, v6, v28, v29
	s_branch .LBB1_362
.LBB1_369:                              ;   in Loop: Header=BB1_6 Depth=2
	s_set_inst_prefetch_distance 0x2
	s_or_b32 exec_lo, exec_lo, s3
.LBB1_370:                              ;   in Loop: Header=BB1_6 Depth=2
	s_delay_alu instid0(SALU_CYCLE_1)
	s_or_b32 exec_lo, exec_lo, s2
	v_add_nc_u32_e32 v5, -1, v5
.LBB1_371:                              ;   in Loop: Header=BB1_6 Depth=2
	s_or_b32 exec_lo, exec_lo, s1
	v_and_b32_e32 v7, 2, v0
	s_mov_b32 s1, exec_lo
	s_delay_alu instid0(VALU_DEP_1)
	v_cmpx_ne_u32_e32 0, v7
	s_cbranch_execz .LBB1_385
; %bb.372:                              ;   in Loop: Header=BB1_6 Depth=2
	s_mov_b32 s2, exec_lo
	v_cmpx_gt_i32_e32 1, v5
	s_cbranch_execz .LBB1_384
; %bb.373:                              ;   in Loop: Header=BB1_6 Depth=2
	v_mov_b32_e32 v7, v5
	s_mov_b32 s3, 0
	s_set_inst_prefetch_distance 0x1
	s_branch .LBB1_376
	.p2align	6
.LBB1_374:                              ;   in Loop: Header=BB1_376 Depth=3
	s_or_b32 exec_lo, exec_lo, s20
.LBB1_375:                              ;   in Loop: Header=BB1_376 Depth=3
	s_delay_alu instid0(SALU_CYCLE_1) | instskip(SKIP_1) | instid1(VALU_DEP_1)
	s_or_b32 exec_lo, exec_lo, s19
	v_add_nc_u32_e32 v7, 1, v7
	v_cmp_eq_u32_e64 s0, 1, v7
	s_delay_alu instid0(VALU_DEP_1) | instskip(NEXT) | instid1(SALU_CYCLE_1)
	s_or_b32 s3, s0, s3
	s_and_not1_b32 exec_lo, exec_lo, s3
	s_cbranch_execz .LBB1_383
.LBB1_376:                              ;   Parent Loop BB1_3 Depth=1
                                        ;     Parent Loop BB1_6 Depth=2
                                        ; =>    This Inner Loop Header: Depth=3
	v_mov_b32_e32 v28, v6
	s_mov_b32 s19, exec_lo
	v_cmpx_lt_i32_e32 1, v7
	s_xor_b32 s19, exec_lo, s19
	s_cbranch_execz .LBB1_380
; %bb.377:                              ;   in Loop: Header=BB1_376 Depth=3
	v_mov_b32_e32 v28, 0
	s_mov_b32 s20, exec_lo
	v_cmpx_eq_u32_e32 2, v7
; %bb.378:                              ;   in Loop: Header=BB1_376 Depth=3
	v_lshlrev_b32_e32 v28, 4, v6
	v_lshrrev_b32_e32 v29, 4, v6
	v_and_b32_e32 v6, 0xf00ff00f, v6
	s_delay_alu instid0(VALU_DEP_3) | instskip(NEXT) | instid1(VALU_DEP_3)
	v_and_b32_e32 v28, 0xf000f00, v28
	v_and_b32_e32 v29, 0xf000f0, v29
	s_delay_alu instid0(VALU_DEP_1)
	v_or3_b32 v28, v28, v6, v29
; %bb.379:                              ;   in Loop: Header=BB1_376 Depth=3
	s_or_b32 exec_lo, exec_lo, s20
	s_delay_alu instid0(VALU_DEP_1)
	v_mov_b32_e32 v6, v28
                                        ; implicit-def: $vgpr28
.LBB1_380:                              ;   in Loop: Header=BB1_376 Depth=3
	s_and_not1_saveexec_b32 s19, s19
	s_cbranch_execz .LBB1_375
; %bb.381:                              ;   in Loop: Header=BB1_376 Depth=3
	v_mov_b32_e32 v6, 0
	s_mov_b32 s20, exec_lo
	v_cmpx_eq_u32_e32 0, v7
	s_cbranch_execz .LBB1_374
; %bb.382:                              ;   in Loop: Header=BB1_376 Depth=3
	v_lshlrev_b32_e32 v6, 1, v28
	v_lshrrev_b32_e32 v29, 1, v28
	v_and_b32_e32 v28, 0x99999999, v28
	s_delay_alu instid0(VALU_DEP_3) | instskip(NEXT) | instid1(VALU_DEP_3)
	v_and_b32_e32 v6, 0x44444444, v6
	v_and_b32_e32 v29, 0x22222222, v29
	s_delay_alu instid0(VALU_DEP_1)
	v_or3_b32 v6, v6, v28, v29
	s_branch .LBB1_374
.LBB1_383:                              ;   in Loop: Header=BB1_6 Depth=2
	s_set_inst_prefetch_distance 0x2
	s_or_b32 exec_lo, exec_lo, s3
.LBB1_384:                              ;   in Loop: Header=BB1_6 Depth=2
	s_delay_alu instid0(SALU_CYCLE_1)
	s_or_b32 exec_lo, exec_lo, s2
	v_add_nc_u32_e32 v5, -1, v5
.LBB1_385:                              ;   in Loop: Header=BB1_6 Depth=2
	s_or_b32 exec_lo, exec_lo, s1
	v_dual_mov_b32 v57, v1 :: v_dual_mov_b32 v58, v2
	v_dual_mov_b32 v59, v3 :: v_dual_mov_b32 v60, v26
	v_mov_b32_e32 v1, 0
	s_clause 0x5
	scratch_store_b128 off, v[57:60], off offset:4
	scratch_store_b32 off, v27, off offset:20
	scratch_store_b8 off, v50, off offset:24
	scratch_store_b128 off, v[8:11], off offset:32
	scratch_store_b32 off, v54, off offset:48
	scratch_store_b8 off, v56, off offset:52
	s_and_saveexec_b32 s2, vcc_lo
	s_cbranch_execz .LBB1_393
; %bb.386:                              ;   in Loop: Header=BB1_6 Depth=2
	v_cmp_ne_u32_e64 s0, 0, v52
	v_mov_b32_e32 v1, 0
	s_mov_b32 s3, 0
	s_mov_b32 s19, 0
	s_set_inst_prefetch_distance 0x1
	s_branch .LBB1_388
	.p2align	6
.LBB1_387:                              ;   in Loop: Header=BB1_388 Depth=3
	s_or_b32 exec_lo, exec_lo, s20
	s_add_i32 s19, s19, 1
	s_delay_alu instid0(SALU_CYCLE_1) | instskip(NEXT) | instid1(VALU_DEP_1)
	v_cmp_eq_u32_e64 s1, s19, v4
	s_or_b32 s3, s1, s3
	s_delay_alu instid0(SALU_CYCLE_1)
	s_and_not1_b32 exec_lo, exec_lo, s3
	s_cbranch_execz .LBB1_392
.LBB1_388:                              ;   Parent Loop BB1_3 Depth=1
                                        ;     Parent Loop BB1_6 Depth=2
                                        ; =>    This Loop Header: Depth=3
                                        ;         Child Loop BB1_390 Depth 4
	s_and_saveexec_b32 s20, s0
	s_cbranch_execz .LBB1_387
; %bb.389:                              ;   in Loop: Header=BB1_388 Depth=3
	s_lshl_b32 s1, s19, 2
	s_delay_alu instid0(SALU_CYCLE_1)
	v_dual_mov_b32 v7, v35 :: v_dual_add_nc_u32 v2, s1, v34
	v_mov_b32_e32 v3, v52
	s_lshl_b32 s22, 1, s19
	s_mov_b32 s21, 0
	scratch_load_b32 v2, v2, off
.LBB1_390:                              ;   Parent Loop BB1_3 Depth=1
                                        ;     Parent Loop BB1_6 Depth=2
                                        ;       Parent Loop BB1_388 Depth=3
                                        ; =>      This Inner Loop Header: Depth=4
	scratch_load_b32 v8, v7, off
	v_add_nc_u32_e32 v3, -1, v3
	v_add_nc_u32_e32 v7, 4, v7
	s_waitcnt vmcnt(0)
	v_cmp_eq_u32_e64 s1, v8, v2
	s_delay_alu instid0(VALU_DEP_1) | instskip(SKIP_1) | instid1(VALU_DEP_2)
	v_cndmask_b32_e64 v8, 0, s22, s1
	v_cmp_eq_u32_e64 s1, 0, v3
	v_or_b32_e32 v1, v8, v1
	s_delay_alu instid0(VALU_DEP_2) | instskip(NEXT) | instid1(SALU_CYCLE_1)
	s_or_b32 s21, s1, s21
	s_and_not1_b32 exec_lo, exec_lo, s21
	s_cbranch_execnz .LBB1_390
; %bb.391:                              ;   in Loop: Header=BB1_388 Depth=3
	s_or_b32 exec_lo, exec_lo, s21
	s_branch .LBB1_387
.LBB1_392:                              ;   in Loop: Header=BB1_6 Depth=2
	s_set_inst_prefetch_distance 0x2
	s_or_b32 exec_lo, exec_lo, s3
.LBB1_393:                              ;   in Loop: Header=BB1_6 Depth=2
	s_delay_alu instid0(SALU_CYCLE_1)
	s_or_b32 exec_lo, exec_lo, s2
	s_waitcnt vmcnt(0)
	v_cmp_ne_u32_e64 s0, 0, v55
	v_and_b32_e32 v7, 8, v1
	v_add_nc_u32_e32 v2, -1, v52
	s_mov_b32 s1, exec_lo
	s_delay_alu instid0(VALU_DEP_3) | instskip(NEXT) | instid1(VALU_DEP_1)
	v_cndmask_b32_e64 v3, 0, -1, s0
	v_xor_b32_e32 v3, v27, v3
	v_cmpx_ne_u32_e32 0, v7
	s_cbranch_execz .LBB1_409
; %bb.394:                              ;   in Loop: Header=BB1_6 Depth=2
	s_mov_b32 s2, exec_lo
	v_cmpx_gt_u32_e32 4, v52
	s_cbranch_execz .LBB1_408
; %bb.395:                              ;   in Loop: Header=BB1_6 Depth=2
	s_mov_b32 s3, 0
	s_branch .LBB1_398
.LBB1_396:                              ;   in Loop: Header=BB1_398 Depth=3
	s_or_b32 exec_lo, exec_lo, s20
.LBB1_397:                              ;   in Loop: Header=BB1_398 Depth=3
	s_delay_alu instid0(SALU_CYCLE_1) | instskip(SKIP_2) | instid1(VALU_DEP_2)
	s_or_b32 exec_lo, exec_lo, s19
	v_add_nc_u32_e32 v7, 1, v2
	v_cmp_lt_i32_e64 s0, 1, v2
	v_mov_b32_e32 v2, v7
	s_delay_alu instid0(VALU_DEP_2) | instskip(NEXT) | instid1(SALU_CYCLE_1)
	s_or_b32 s3, s0, s3
	s_and_not1_b32 exec_lo, exec_lo, s3
	s_cbranch_execz .LBB1_407
.LBB1_398:                              ;   Parent Loop BB1_3 Depth=1
                                        ;     Parent Loop BB1_6 Depth=2
                                        ; =>    This Inner Loop Header: Depth=3
	v_mov_b32_e32 v7, v3
	s_mov_b32 s19, exec_lo
	v_cmpx_lt_i32_e32 0, v2
	s_xor_b32 s19, exec_lo, s19
	s_cbranch_execz .LBB1_404
; %bb.399:                              ;   in Loop: Header=BB1_398 Depth=3
	v_cmp_lt_i32_e64 s0, 1, v2
	s_delay_alu instid0(VALU_DEP_1) | instskip(NEXT) | instid1(SALU_CYCLE_1)
	s_and_saveexec_b32 s20, s0
	s_xor_b32 s0, exec_lo, s20
; %bb.400:                              ;   in Loop: Header=BB1_398 Depth=3
	v_lshlrev_b32_e32 v7, 4, v3
	v_lshrrev_b32_e32 v8, 4, v3
	v_and_b32_e32 v3, 0xf00ff00f, v3
	s_delay_alu instid0(VALU_DEP_3) | instskip(NEXT) | instid1(VALU_DEP_3)
	v_and_b32_e32 v7, 0xf000f00, v7
	v_and_b32_e32 v8, 0xf000f0, v8
	s_delay_alu instid0(VALU_DEP_1)
	v_or3_b32 v3, v7, v3, v8
; %bb.401:                              ;   in Loop: Header=BB1_398 Depth=3
	s_and_not1_saveexec_b32 s0, s0
; %bb.402:                              ;   in Loop: Header=BB1_398 Depth=3
	s_delay_alu instid0(VALU_DEP_1) | instskip(SKIP_2) | instid1(VALU_DEP_3)
	v_lshlrev_b32_e32 v7, 2, v3
	v_lshrrev_b32_e32 v8, 2, v3
	v_and_b32_e32 v3, 0xc3c3c3c3, v3
	v_and_b32_e32 v7, 0x30303030, v7
	s_delay_alu instid0(VALU_DEP_3) | instskip(NEXT) | instid1(VALU_DEP_1)
	v_and_b32_e32 v8, 0xc0c0c0c, v8
	v_or3_b32 v3, v7, v3, v8
; %bb.403:                              ;   in Loop: Header=BB1_398 Depth=3
	s_or_b32 exec_lo, exec_lo, s0
                                        ; implicit-def: $vgpr7
.LBB1_404:                              ;   in Loop: Header=BB1_398 Depth=3
	s_and_not1_saveexec_b32 s19, s19
	s_cbranch_execz .LBB1_397
; %bb.405:                              ;   in Loop: Header=BB1_398 Depth=3
	v_mov_b32_e32 v3, 0
	s_mov_b32 s20, exec_lo
	v_cmpx_eq_u32_e32 0, v2
	s_cbranch_execz .LBB1_396
; %bb.406:                              ;   in Loop: Header=BB1_398 Depth=3
	v_lshlrev_b32_e32 v3, 1, v7
	v_lshrrev_b32_e32 v8, 1, v7
	v_and_b32_e32 v7, 0x99999999, v7
	s_delay_alu instid0(VALU_DEP_3) | instskip(NEXT) | instid1(VALU_DEP_3)
	v_and_b32_e32 v3, 0x44444444, v3
	v_and_b32_e32 v8, 0x22222222, v8
	s_delay_alu instid0(VALU_DEP_1)
	v_or3_b32 v3, v3, v7, v8
	s_branch .LBB1_396
.LBB1_407:                              ;   in Loop: Header=BB1_6 Depth=2
	s_or_b32 exec_lo, exec_lo, s3
.LBB1_408:                              ;   in Loop: Header=BB1_6 Depth=2
	s_delay_alu instid0(SALU_CYCLE_1)
	s_or_b32 exec_lo, exec_lo, s2
	v_add_nc_u32_e32 v2, -2, v52
.LBB1_409:                              ;   in Loop: Header=BB1_6 Depth=2
	s_or_b32 exec_lo, exec_lo, s1
	v_and_b32_e32 v7, 4, v1
	s_mov_b32 s1, exec_lo
	s_delay_alu instid0(VALU_DEP_1)
	v_cmpx_ne_u32_e32 0, v7
	s_cbranch_execz .LBB1_421
; %bb.410:                              ;   in Loop: Header=BB1_6 Depth=2
	s_mov_b32 s2, exec_lo
	v_cmpx_gt_i32_e32 2, v2
	s_cbranch_execz .LBB1_420
; %bb.411:                              ;   in Loop: Header=BB1_6 Depth=2
	v_mov_b32_e32 v7, v2
	s_mov_b32 s3, 0
	s_set_inst_prefetch_distance 0x1
	s_branch .LBB1_414
	.p2align	6
.LBB1_412:                              ;   in Loop: Header=BB1_414 Depth=3
	s_or_b32 exec_lo, exec_lo, s20
.LBB1_413:                              ;   in Loop: Header=BB1_414 Depth=3
	s_delay_alu instid0(SALU_CYCLE_1) | instskip(SKIP_2) | instid1(VALU_DEP_2)
	s_or_b32 exec_lo, exec_lo, s19
	v_add_nc_u32_e32 v8, 1, v7
	v_cmp_lt_i32_e64 s0, 0, v7
	v_mov_b32_e32 v7, v8
	s_delay_alu instid0(VALU_DEP_2) | instskip(NEXT) | instid1(SALU_CYCLE_1)
	s_or_b32 s3, s0, s3
	s_and_not1_b32 exec_lo, exec_lo, s3
	s_cbranch_execz .LBB1_419
.LBB1_414:                              ;   Parent Loop BB1_3 Depth=1
                                        ;     Parent Loop BB1_6 Depth=2
                                        ; =>    This Inner Loop Header: Depth=3
	s_delay_alu instid0(VALU_DEP_1) | instskip(SKIP_1) | instid1(VALU_DEP_2)
	v_cmp_lt_i32_e64 s0, 0, v7
	v_mov_b32_e32 v8, v3
	s_and_saveexec_b32 s19, s0
	s_delay_alu instid0(SALU_CYCLE_1)
	s_xor_b32 s0, exec_lo, s19
; %bb.415:                              ;   in Loop: Header=BB1_414 Depth=3
	v_lshlrev_b32_e32 v8, 2, v3
	v_lshrrev_b32_e32 v9, 2, v3
	v_and_b32_e32 v3, 0xc3c3c3c3, v3
	s_delay_alu instid0(VALU_DEP_3) | instskip(NEXT) | instid1(VALU_DEP_3)
	v_and_b32_e32 v8, 0x30303030, v8
	v_and_b32_e32 v9, 0xc0c0c0c, v9
	s_delay_alu instid0(VALU_DEP_1)
	v_or3_b32 v3, v8, v3, v9
                                        ; implicit-def: $vgpr8
; %bb.416:                              ;   in Loop: Header=BB1_414 Depth=3
	s_and_not1_saveexec_b32 s19, s0
	s_cbranch_execz .LBB1_413
; %bb.417:                              ;   in Loop: Header=BB1_414 Depth=3
	v_mov_b32_e32 v3, 0
	s_mov_b32 s20, exec_lo
	v_cmpx_eq_u32_e32 0, v7
	s_cbranch_execz .LBB1_412
; %bb.418:                              ;   in Loop: Header=BB1_414 Depth=3
	v_lshlrev_b32_e32 v3, 1, v8
	v_lshrrev_b32_e32 v9, 1, v8
	v_and_b32_e32 v8, 0x99999999, v8
	s_delay_alu instid0(VALU_DEP_3) | instskip(NEXT) | instid1(VALU_DEP_3)
	v_and_b32_e32 v3, 0x44444444, v3
	v_and_b32_e32 v9, 0x22222222, v9
	s_delay_alu instid0(VALU_DEP_1)
	v_or3_b32 v3, v3, v8, v9
	s_branch .LBB1_412
.LBB1_419:                              ;   in Loop: Header=BB1_6 Depth=2
	s_set_inst_prefetch_distance 0x2
	s_or_b32 exec_lo, exec_lo, s3
.LBB1_420:                              ;   in Loop: Header=BB1_6 Depth=2
	s_delay_alu instid0(SALU_CYCLE_1)
	s_or_b32 exec_lo, exec_lo, s2
	v_add_nc_u32_e32 v2, -1, v2
.LBB1_421:                              ;   in Loop: Header=BB1_6 Depth=2
	s_or_b32 exec_lo, exec_lo, s1
	v_and_b32_e32 v7, 2, v1
	s_mov_b32 s1, exec_lo
	s_delay_alu instid0(VALU_DEP_1)
	v_cmpx_ne_u32_e32 0, v7
	s_cbranch_execz .LBB1_435
; %bb.422:                              ;   in Loop: Header=BB1_6 Depth=2
	s_mov_b32 s2, exec_lo
	v_cmpx_gt_i32_e32 1, v2
	s_cbranch_execz .LBB1_434
; %bb.423:                              ;   in Loop: Header=BB1_6 Depth=2
	v_mov_b32_e32 v7, v2
	s_mov_b32 s3, 0
	s_set_inst_prefetch_distance 0x1
	s_branch .LBB1_426
	.p2align	6
.LBB1_424:                              ;   in Loop: Header=BB1_426 Depth=3
	s_or_b32 exec_lo, exec_lo, s20
.LBB1_425:                              ;   in Loop: Header=BB1_426 Depth=3
	s_delay_alu instid0(SALU_CYCLE_1) | instskip(SKIP_1) | instid1(VALU_DEP_1)
	s_or_b32 exec_lo, exec_lo, s19
	v_add_nc_u32_e32 v7, 1, v7
	v_cmp_eq_u32_e64 s0, 1, v7
	s_delay_alu instid0(VALU_DEP_1) | instskip(NEXT) | instid1(SALU_CYCLE_1)
	s_or_b32 s3, s0, s3
	s_and_not1_b32 exec_lo, exec_lo, s3
	s_cbranch_execz .LBB1_433
.LBB1_426:                              ;   Parent Loop BB1_3 Depth=1
                                        ;     Parent Loop BB1_6 Depth=2
                                        ; =>    This Inner Loop Header: Depth=3
	v_mov_b32_e32 v8, v3
	s_mov_b32 s19, exec_lo
	v_cmpx_lt_i32_e32 1, v7
	s_xor_b32 s19, exec_lo, s19
	s_cbranch_execz .LBB1_430
; %bb.427:                              ;   in Loop: Header=BB1_426 Depth=3
	v_mov_b32_e32 v8, 0
	s_mov_b32 s20, exec_lo
	v_cmpx_eq_u32_e32 2, v7
; %bb.428:                              ;   in Loop: Header=BB1_426 Depth=3
	v_lshlrev_b32_e32 v8, 4, v3
	v_lshrrev_b32_e32 v9, 4, v3
	v_and_b32_e32 v3, 0xf00ff00f, v3
	s_delay_alu instid0(VALU_DEP_3) | instskip(NEXT) | instid1(VALU_DEP_3)
	v_and_b32_e32 v8, 0xf000f00, v8
	v_and_b32_e32 v9, 0xf000f0, v9
	s_delay_alu instid0(VALU_DEP_1)
	v_or3_b32 v8, v8, v3, v9
; %bb.429:                              ;   in Loop: Header=BB1_426 Depth=3
	s_or_b32 exec_lo, exec_lo, s20
	s_delay_alu instid0(VALU_DEP_1)
	v_mov_b32_e32 v3, v8
                                        ; implicit-def: $vgpr8
.LBB1_430:                              ;   in Loop: Header=BB1_426 Depth=3
	s_and_not1_saveexec_b32 s19, s19
	s_cbranch_execz .LBB1_425
; %bb.431:                              ;   in Loop: Header=BB1_426 Depth=3
	v_mov_b32_e32 v3, 0
	s_mov_b32 s20, exec_lo
	v_cmpx_eq_u32_e32 0, v7
	s_cbranch_execz .LBB1_424
; %bb.432:                              ;   in Loop: Header=BB1_426 Depth=3
	v_lshlrev_b32_e32 v3, 1, v8
	v_lshrrev_b32_e32 v9, 1, v8
	v_and_b32_e32 v8, 0x99999999, v8
	s_delay_alu instid0(VALU_DEP_3) | instskip(NEXT) | instid1(VALU_DEP_3)
	v_and_b32_e32 v3, 0x44444444, v3
	v_and_b32_e32 v9, 0x22222222, v9
	s_delay_alu instid0(VALU_DEP_1)
	v_or3_b32 v3, v3, v8, v9
	s_branch .LBB1_424
.LBB1_433:                              ;   in Loop: Header=BB1_6 Depth=2
	s_set_inst_prefetch_distance 0x2
	s_or_b32 exec_lo, exec_lo, s3
.LBB1_434:                              ;   in Loop: Header=BB1_6 Depth=2
	s_delay_alu instid0(SALU_CYCLE_1)
	s_or_b32 exec_lo, exec_lo, s2
	v_add_nc_u32_e32 v2, -1, v2
.LBB1_435:                              ;   in Loop: Header=BB1_6 Depth=2
	s_or_b32 exec_lo, exec_lo, s1
	v_dual_mov_b32 v7, 0 :: v_dual_and_b32 v0, 1, v0
	v_dual_mov_b32 v8, 0 :: v_dual_and_b32 v1, 1, v1
	v_cmp_gt_i32_e64 s0, 0, v5
	s_delay_alu instid0(VALU_DEP_3) | instskip(SKIP_1) | instid1(VALU_DEP_4)
	v_cmp_eq_u32_e64 s1, 1, v0
	v_cmp_gt_i32_e64 s2, 0, v2
	v_cmp_eq_u32_e64 s3, 1, v1
	s_mov_b32 s19, 0
	s_delay_alu instid0(VALU_DEP_3) | instskip(NEXT) | instid1(SALU_CYCLE_1)
	s_and_b32 s0, s1, s0
	v_cndmask_b32_e64 v0, v6, 0, s0
	s_delay_alu instid0(VALU_DEP_2) | instskip(NEXT) | instid1(SALU_CYCLE_1)
	s_and_b32 s0, s3, s2
	v_cndmask_b32_e64 v1, v3, 0, s0
	s_delay_alu instid0(VALU_DEP_1) | instskip(NEXT) | instid1(VALU_DEP_1)
	v_and_b32_e32 v6, v1, v0
	v_and_b32_e32 v3, 0xffff, v6
	v_bfi_b32 v5, 0xffff, v6, v54
	global_store_b32 v[24:25], v5, off offset:20
	s_and_saveexec_b32 s1, vcc_lo
	s_cbranch_execz .LBB1_439
; %bb.436:                              ;   in Loop: Header=BB1_6 Depth=2
	v_dual_mov_b32 v8, 0 :: v_dual_mov_b32 v7, v4
	s_mov_b32 s20, 0
	s_getpc_b64 s[2:3]
	s_add_u32 s2, s2, __const._Z18MinimizeCutSupportPN2rw3CutE.masks@rel32@lo+4
	s_addc_u32 s3, s3, __const._Z18MinimizeCutSupportPN2rw3CutE.masks@rel32@hi+12
	.p2align	6
.LBB1_437:                              ;   Parent Loop BB1_3 Depth=1
                                        ;     Parent Loop BB1_6 Depth=2
                                        ; =>    This Inner Loop Header: Depth=3
	s_load_b64 s[22:23], s[2:3], 0x0
	s_lshl_b32 s0, 1, s20
	s_add_i32 s20, s20, 1
	s_add_u32 s2, s2, 8
	s_addc_u32 s3, s3, 0
	s_waitcnt lgkmcnt(0)
	v_and_b32_e32 v0, s23, v3
	v_and_b32_e32 v1, s22, v3
	s_delay_alu instid0(VALU_DEP_2) | instskip(NEXT) | instid1(VALU_DEP_1)
	v_lshrrev_b32_e32 v0, s0, v0
	v_cmp_eq_u32_e32 vcc_lo, v1, v0
	v_cndmask_b32_e64 v0, s0, 0, vcc_lo
	v_cmp_eq_u32_e64 s0, s20, v4
	v_subrev_co_ci_u32_e32 v7, vcc_lo, 0, v7, vcc_lo
	s_delay_alu instid0(VALU_DEP_3) | instskip(NEXT) | instid1(VALU_DEP_3)
	v_or_b32_e32 v8, v0, v8
	s_or_b32 s19, s0, s19
	s_delay_alu instid0(SALU_CYCLE_1)
	s_and_not1_b32 exec_lo, exec_lo, s19
	s_cbranch_execnz .LBB1_437
; %bb.438:                              ;   in Loop: Header=BB1_6 Depth=2
	s_or_b32 exec_lo, exec_lo, s19
.LBB1_439:                              ;   in Loop: Header=BB1_6 Depth=2
	s_delay_alu instid0(SALU_CYCLE_1)
	s_or_b32 exec_lo, exec_lo, s1
	v_add_co_u32 v0, vcc_lo, v24, 4
	v_and_b32_e32 v2, 0xffff0000, v54
	v_add_co_ci_u32_e32 v1, vcc_lo, 0, v25, vcc_lo
	s_mov_b32 s19, exec_lo
	v_cmpx_ne_u32_e64 v7, v4
	s_cbranch_execz .LBB1_520
; %bb.440:                              ;   in Loop: Header=BB1_6 Depth=2
	v_and_b32_e32 v5, 2, v8
	v_and_b32_e32 v4, 1, v8
	s_mov_b32 s0, exec_lo
	s_delay_alu instid0(VALU_DEP_2)
	v_cmpx_ne_u32_e32 0, v5
; %bb.441:                              ;   in Loop: Header=BB1_6 Depth=2
	v_lshlrev_b32_e32 v5, 1, v3
	v_lshrrev_b32_e32 v9, 1, v6
	v_cmp_eq_u32_e32 vcc_lo, 0, v4
	v_and_b32_e32 v6, 0x9999, v6
	v_add_nc_u32_e32 v4, 1, v4
	v_and_b32_e32 v5, 0x4444, v5
	v_and_b32_e32 v9, 0x2222, v9
	s_delay_alu instid0(VALU_DEP_1) | instskip(NEXT) | instid1(VALU_DEP_1)
	v_or3_b32 v5, v9, v6, v5
	v_cndmask_b32_e32 v3, v3, v5, vcc_lo
; %bb.442:                              ;   in Loop: Header=BB1_6 Depth=2
	s_or_b32 exec_lo, exec_lo, s0
	v_and_b32_e32 v5, 4, v8
	s_mov_b32 s0, exec_lo
	s_delay_alu instid0(VALU_DEP_1)
	v_cmpx_ne_u32_e32 0, v5
	s_cbranch_execz .LBB1_459
; %bb.443:                              ;   in Loop: Header=BB1_6 Depth=2
	s_mov_b32 s1, exec_lo
	v_cmpx_gt_u32_e32 2, v4
	s_cbranch_execz .LBB1_458
; %bb.444:                              ;   in Loop: Header=BB1_6 Depth=2
	s_mov_b32 s3, 2
	s_mov_b32 s2, 0
	s_branch .LBB1_446
.LBB1_445:                              ;   in Loop: Header=BB1_446 Depth=3
	s_add_i32 s3, s3, -1
	s_delay_alu instid0(SALU_CYCLE_1) | instskip(SKIP_1) | instid1(SALU_CYCLE_1)
	v_cmp_le_u32_e32 vcc_lo, s3, v4
	s_or_b32 s2, vcc_lo, s2
	s_and_not1_b32 exec_lo, exec_lo, s2
	s_cbranch_execz .LBB1_457
.LBB1_446:                              ;   Parent Loop BB1_3 Depth=1
                                        ;     Parent Loop BB1_6 Depth=2
                                        ; =>    This Inner Loop Header: Depth=3
	v_mov_b32_e32 v5, v3
	s_cmp_lt_i32 s3, 2
	s_cbranch_scc1 .LBB1_450
; %bb.447:                              ;   in Loop: Header=BB1_446 Depth=3
	s_cmp_lt_i32 s3, 3
	s_cbranch_scc1 .LBB1_451
; %bb.448:                              ;   in Loop: Header=BB1_446 Depth=3
	v_mov_b32_e32 v3, 0
	s_cmp_eq_u32 s3, 3
	s_cbranch_scc0 .LBB1_456
; %bb.449:                              ;   in Loop: Header=BB1_446 Depth=3
	v_lshlrev_b32_e32 v3, 4, v5
	v_lshrrev_b32_e32 v6, 4, v5
	v_and_b32_e32 v9, 0xf00ff00f, v5
	s_delay_alu instid0(VALU_DEP_3) | instskip(NEXT) | instid1(VALU_DEP_3)
	v_and_b32_e32 v3, 0xf000f00, v3
	v_and_b32_e32 v6, 0xf000f0, v6
	s_delay_alu instid0(VALU_DEP_1)
	v_or3_b32 v3, v3, v9, v6
	s_cbranch_execz .LBB1_452
	s_branch .LBB1_453
.LBB1_450:                              ;   in Loop: Header=BB1_446 Depth=3
                                        ; implicit-def: $vgpr3
	s_branch .LBB1_454
.LBB1_451:                              ;   in Loop: Header=BB1_446 Depth=3
                                        ; implicit-def: $vgpr3
.LBB1_452:                              ;   in Loop: Header=BB1_446 Depth=3
	v_lshlrev_b32_e32 v3, 2, v5
	v_lshrrev_b32_e32 v6, 2, v5
	v_and_b32_e32 v9, 0xc3c3c3c3, v5
	s_delay_alu instid0(VALU_DEP_3) | instskip(NEXT) | instid1(VALU_DEP_3)
	v_and_b32_e32 v3, 0x30303030, v3
	v_and_b32_e32 v6, 0xc0c0c0c, v6
	s_delay_alu instid0(VALU_DEP_1)
	v_or3_b32 v3, v3, v9, v6
.LBB1_453:                              ;   in Loop: Header=BB1_446 Depth=3
	s_cbranch_execnz .LBB1_445
.LBB1_454:                              ;   in Loop: Header=BB1_446 Depth=3
	v_mov_b32_e32 v3, 0
	s_cmp_eq_u32 s3, 1
	s_cbranch_scc0 .LBB1_445
; %bb.455:                              ;   in Loop: Header=BB1_446 Depth=3
	v_lshlrev_b32_e32 v3, 1, v5
	v_lshrrev_b32_e32 v6, 1, v5
	v_and_b32_e32 v5, 0x99999999, v5
	s_delay_alu instid0(VALU_DEP_3) | instskip(NEXT) | instid1(VALU_DEP_3)
	v_and_b32_e32 v3, 0x44444444, v3
	v_and_b32_e32 v6, 0x22222222, v6
	s_delay_alu instid0(VALU_DEP_1)
	v_or3_b32 v3, v3, v5, v6
	s_branch .LBB1_445
.LBB1_456:                              ;   in Loop: Header=BB1_446 Depth=3
	s_cbranch_execz .LBB1_452
	s_branch .LBB1_453
.LBB1_457:                              ;   in Loop: Header=BB1_6 Depth=2
	s_or_b32 exec_lo, exec_lo, s2
.LBB1_458:                              ;   in Loop: Header=BB1_6 Depth=2
	s_delay_alu instid0(SALU_CYCLE_1)
	s_or_b32 exec_lo, exec_lo, s1
	v_add_nc_u32_e32 v4, 1, v4
.LBB1_459:                              ;   in Loop: Header=BB1_6 Depth=2
	s_or_b32 exec_lo, exec_lo, s0
	v_and_b32_e32 v5, 8, v8
	s_delay_alu instid0(VALU_DEP_2) | instskip(NEXT) | instid1(VALU_DEP_2)
	v_cmp_gt_i32_e64 s0, 3, v4
	v_cmp_ne_u32_e32 vcc_lo, 0, v5
	s_delay_alu instid0(VALU_DEP_2) | instskip(NEXT) | instid1(SALU_CYCLE_1)
	s_and_b32 s1, vcc_lo, s0
	s_and_saveexec_b32 s0, s1
	s_cbranch_execz .LBB1_474
; %bb.460:                              ;   in Loop: Header=BB1_6 Depth=2
	s_mov_b32 s2, 3
	s_mov_b32 s1, 0
	s_branch .LBB1_462
.LBB1_461:                              ;   in Loop: Header=BB1_462 Depth=3
	s_add_i32 s2, s2, -1
	s_delay_alu instid0(SALU_CYCLE_1) | instskip(SKIP_1) | instid1(SALU_CYCLE_1)
	v_cmp_le_u32_e32 vcc_lo, s2, v4
	s_or_b32 s1, vcc_lo, s1
	s_and_not1_b32 exec_lo, exec_lo, s1
	s_cbranch_execz .LBB1_473
.LBB1_462:                              ;   Parent Loop BB1_3 Depth=1
                                        ;     Parent Loop BB1_6 Depth=2
                                        ; =>    This Inner Loop Header: Depth=3
	v_mov_b32_e32 v5, v3
	s_cmp_lt_i32 s2, 2
	s_cbranch_scc1 .LBB1_466
; %bb.463:                              ;   in Loop: Header=BB1_462 Depth=3
	s_cmp_lt_i32 s2, 3
	s_cbranch_scc1 .LBB1_467
; %bb.464:                              ;   in Loop: Header=BB1_462 Depth=3
	v_mov_b32_e32 v3, 0
	s_cmp_eq_u32 s2, 3
	s_cbranch_scc0 .LBB1_472
; %bb.465:                              ;   in Loop: Header=BB1_462 Depth=3
	v_lshlrev_b32_e32 v3, 4, v5
	v_lshrrev_b32_e32 v6, 4, v5
	v_and_b32_e32 v9, 0xf00ff00f, v5
	s_delay_alu instid0(VALU_DEP_3) | instskip(NEXT) | instid1(VALU_DEP_3)
	v_and_b32_e32 v3, 0xf000f00, v3
	v_and_b32_e32 v6, 0xf000f0, v6
	s_delay_alu instid0(VALU_DEP_1)
	v_or3_b32 v3, v3, v9, v6
	s_cbranch_execz .LBB1_468
	s_branch .LBB1_469
.LBB1_466:                              ;   in Loop: Header=BB1_462 Depth=3
                                        ; implicit-def: $vgpr3
	s_branch .LBB1_470
.LBB1_467:                              ;   in Loop: Header=BB1_462 Depth=3
                                        ; implicit-def: $vgpr3
.LBB1_468:                              ;   in Loop: Header=BB1_462 Depth=3
	v_lshlrev_b32_e32 v3, 2, v5
	v_lshrrev_b32_e32 v6, 2, v5
	v_and_b32_e32 v9, 0xc3c3c3c3, v5
	s_delay_alu instid0(VALU_DEP_3) | instskip(NEXT) | instid1(VALU_DEP_3)
	v_and_b32_e32 v3, 0x30303030, v3
	v_and_b32_e32 v6, 0xc0c0c0c, v6
	s_delay_alu instid0(VALU_DEP_1)
	v_or3_b32 v3, v3, v9, v6
.LBB1_469:                              ;   in Loop: Header=BB1_462 Depth=3
	s_cbranch_execnz .LBB1_461
.LBB1_470:                              ;   in Loop: Header=BB1_462 Depth=3
	v_mov_b32_e32 v3, 0
	s_cmp_eq_u32 s2, 1
	s_cbranch_scc0 .LBB1_461
; %bb.471:                              ;   in Loop: Header=BB1_462 Depth=3
	v_lshlrev_b32_e32 v3, 1, v5
	v_lshrrev_b32_e32 v6, 1, v5
	v_and_b32_e32 v5, 0x99999999, v5
	s_delay_alu instid0(VALU_DEP_3) | instskip(NEXT) | instid1(VALU_DEP_3)
	v_and_b32_e32 v3, 0x44444444, v3
	v_and_b32_e32 v6, 0x22222222, v6
	s_delay_alu instid0(VALU_DEP_1)
	v_or3_b32 v3, v3, v5, v6
	s_branch .LBB1_461
.LBB1_472:                              ;   in Loop: Header=BB1_462 Depth=3
	s_cbranch_execz .LBB1_468
	s_branch .LBB1_469
.LBB1_473:                              ;   in Loop: Header=BB1_6 Depth=2
	s_or_b32 exec_lo, exec_lo, s1
.LBB1_474:                              ;   in Loop: Header=BB1_6 Depth=2
	s_delay_alu instid0(SALU_CYCLE_1)
	s_or_b32 exec_lo, exec_lo, s0
	v_and_b32_e32 v4, 0x78000000, v54
	v_and_or_b32 v5, 0xffff, v3, v2
	v_mov_b32_e32 v6, 0
	s_mov_b32 s1, exec_lo
	s_clause 0x1
	global_store_b32 v[24:25], v5, off offset:20
	global_store_b32 v[24:25], v48, off
	v_cmpx_ne_u32_e32 0, v4
	s_cbranch_execz .LBB1_480
; %bb.475:                              ;   in Loop: Header=BB1_6 Depth=2
	v_dual_mov_b32 v6, 0 :: v_dual_mov_b32 v3, v1
	v_mov_b32_e32 v2, v0
	v_mov_b32_e32 v4, 0
	s_mov_b32 s2, 0
	s_mov_b32 s3, 0
	s_set_inst_prefetch_distance 0x1
	s_branch .LBB1_477
	.p2align	6
.LBB1_476:                              ;   in Loop: Header=BB1_477 Depth=3
	s_or_b32 exec_lo, exec_lo, s0
	s_waitcnt vmcnt(0)
	v_bfe_u32 v9, v5, 27, 4
	s_add_i32 s3, s3, 1
	v_add_co_u32 v2, s0, v2, 4
	s_delay_alu instid0(VALU_DEP_1) | instskip(NEXT) | instid1(VALU_DEP_3)
	v_add_co_ci_u32_e64 v3, s0, 0, v3, s0
	v_cmp_ge_u32_e32 vcc_lo, s3, v9
	s_or_b32 s2, vcc_lo, s2
	s_delay_alu instid0(SALU_CYCLE_1)
	s_and_not1_b32 exec_lo, exec_lo, s2
	s_cbranch_execz .LBB1_479
.LBB1_477:                              ;   Parent Loop BB1_3 Depth=1
                                        ;     Parent Loop BB1_6 Depth=2
                                        ; =>    This Inner Loop Header: Depth=3
	v_lshrrev_b32_e32 v9, s3, v8
	s_mov_b32 s0, exec_lo
	s_delay_alu instid0(VALU_DEP_1) | instskip(NEXT) | instid1(VALU_DEP_1)
	v_and_b32_e32 v9, 1, v9
	v_cmpx_eq_u32_e32 1, v9
	s_cbranch_execz .LBB1_476
; %bb.478:                              ;   in Loop: Header=BB1_477 Depth=3
	global_load_b32 v9, v[2:3], off
	v_ashrrev_i32_e32 v5, 31, v4
	s_delay_alu instid0(VALU_DEP_1) | instskip(SKIP_1) | instid1(VALU_DEP_2)
	v_lshlrev_b64 v[5:6], 2, v[4:5]
	v_add_nc_u32_e32 v4, 1, v4
	v_add_co_u32 v5, vcc_lo, v0, v5
	s_delay_alu instid0(VALU_DEP_3)
	v_add_co_ci_u32_e32 v6, vcc_lo, v1, v6, vcc_lo
	s_waitcnt vmcnt(0)
	global_store_b32 v[5:6], v9, off
	s_clause 0x1
	global_load_b32 v6, v[24:25], off
	global_load_b32 v5, v[24:25], off offset:20
	s_waitcnt vmcnt(1)
	v_lshl_or_b32 v6, 1, v9, v6
	global_store_b32 v[24:25], v6, off
	s_branch .LBB1_476
.LBB1_479:                              ;   in Loop: Header=BB1_6 Depth=2
	s_set_inst_prefetch_distance 0x2
	s_or_b32 exec_lo, exec_lo, s2
.LBB1_480:                              ;   in Loop: Header=BB1_6 Depth=2
	s_delay_alu instid0(SALU_CYCLE_1) | instskip(SKIP_4) | instid1(VALU_DEP_2)
	s_or_b32 exec_lo, exec_lo, s1
	v_lshlrev_b32_e32 v2, 27, v7
	v_and_b32_e32 v4, 15, v7
	s_mov_b32 s20, 0
	s_mov_b32 s22, 0
                                        ; implicit-def: $sgpr21
                                        ; implicit-def: $sgpr23
	v_bfi_b32 v5, 0x87ffffff, v5, v2
	s_delay_alu instid0(VALU_DEP_2)
	v_cmp_ne_u32_e32 vcc_lo, 0, v4
	global_store_b32 v[24:25], v5, off offset:20
	s_branch .LBB1_482
.LBB1_481:                              ;   in Loop: Header=BB1_482 Depth=3
	s_or_b32 exec_lo, exec_lo, s2
	s_delay_alu instid0(SALU_CYCLE_1) | instskip(NEXT) | instid1(SALU_CYCLE_1)
	s_and_b32 s0, exec_lo, s1
	s_or_b32 s20, s0, s20
	s_and_not1_b32 s0, s21, exec_lo
	s_and_b32 s1, s23, exec_lo
	s_delay_alu instid0(SALU_CYCLE_1)
	s_or_b32 s21, s0, s1
	s_and_not1_b32 exec_lo, exec_lo, s20
	s_cbranch_execz .LBB1_517
.LBB1_482:                              ;   Parent Loop BB1_3 Depth=1
                                        ;     Parent Loop BB1_6 Depth=2
                                        ; =>    This Loop Header: Depth=3
                                        ;         Child Loop BB1_489 Depth 4
                                        ;           Child Loop BB1_491 Depth 5
                                        ;         Child Loop BB1_503 Depth 4
                                        ;           Child Loop BB1_505 Depth 5
	v_cmp_eq_u32_e64 s0, s22, v49
	s_mov_b32 s24, exec_lo
                                        ; implicit-def: $sgpr26
	v_cmpx_ne_u32_e64 s22, v49
	s_cbranch_execz .LBB1_515
; %bb.483:                              ;   in Loop: Header=BB1_482 Depth=3
	v_mad_u64_u32 v[2:3], null, s22, 28, v[12:13]
	s_mov_b32 s2, -1
	s_mov_b32 s25, exec_lo
                                        ; implicit-def: $sgpr26
	global_load_u8 v8, v[2:3], off offset:24
	s_waitcnt vmcnt(0)
	v_and_b32_e32 v7, 1, v8
	s_delay_alu instid0(VALU_DEP_1)
	v_cmpx_eq_u32_e32 1, v7
	s_cbranch_execz .LBB1_514
; %bb.484:                              ;   in Loop: Header=BB1_482 Depth=3
	s_clause 0x1
	global_load_b32 v9, v[2:3], off offset:20
	global_load_b32 v11, v[2:3], off
	s_mov_b32 s27, 0
                                        ; implicit-def: $sgpr26
	s_mov_b32 s2, exec_lo
	s_waitcnt vmcnt(1)
	v_bfe_u32 v7, v9, 27, 4
	s_waitcnt vmcnt(0)
	v_and_b32_e32 v10, v6, v11
	s_delay_alu instid0(VALU_DEP_2)
	v_cmpx_le_u32_e64 v7, v4
	s_xor_b32 s28, exec_lo, s2
	s_cbranch_execz .LBB1_498
; %bb.485:                              ;   in Loop: Header=BB1_482 Depth=3
	s_mov_b32 s2, -1
	s_mov_b32 s27, exec_lo
                                        ; implicit-def: $sgpr26
	v_cmpx_eq_u32_e64 v10, v11
	s_cbranch_execz .LBB1_497
; %bb.486:                              ;   in Loop: Header=BB1_482 Depth=3
	s_clause 0x2
	global_load_b128 v[26:29], v[24:25], off
	global_load_b96 v[54:56], v[24:25], off offset:16
	global_load_b128 v[50:53], v[2:3], off offset:4
	v_mov_b32_e32 v2, 1
	s_mov_b32 s26, exec_lo
	s_waitcnt vmcnt(2)
	scratch_store_b128 off, v[26:29], off offset:28
	s_waitcnt vmcnt(1)
	s_clause 0x1
	scratch_store_b32 off, v54, off offset:44
	scratch_store_b64 off, v[55:56], off offset:48
	s_waitcnt vmcnt(0)
	s_clause 0x2
	scratch_store_b128 off, v[50:53], off offset:4
	scratch_store_b32 off, v9, off offset:20
	scratch_store_b8 off, v8, off offset:24
	v_cmpx_ne_u32_e32 0, v7
	s_cbranch_execz .LBB1_496
; %bb.487:                              ;   in Loop: Header=BB1_482 Depth=3
	scratch_load_b32 v2, off, off offset:48
	s_mov_b32 s34, 0
	s_mov_b32 s29, 0
	;; [unrolled: 1-line block ×3, first 2 shown]
                                        ; implicit-def: $sgpr31
                                        ; implicit-def: $sgpr33
	s_waitcnt vmcnt(0)
	v_bfe_u32 v2, v2, 27, 4
	s_delay_alu instid0(VALU_DEP_1)
	v_cmp_ne_u32_e64 s1, 0, v2
	s_branch .LBB1_489
.LBB1_488:                              ;   in Loop: Header=BB1_489 Depth=4
	s_or_b32 exec_lo, exec_lo, s35
	s_delay_alu instid0(SALU_CYCLE_1) | instskip(NEXT) | instid1(SALU_CYCLE_1)
	s_and_b32 s2, exec_lo, s3
	s_or_b32 s29, s2, s29
	s_and_not1_b32 s2, s31, exec_lo
	s_and_b32 s3, s33, exec_lo
	s_delay_alu instid0(SALU_CYCLE_1)
	s_or_b32 s31, s2, s3
	s_and_not1_b32 exec_lo, exec_lo, s29
	s_cbranch_execz .LBB1_495
.LBB1_489:                              ;   Parent Loop BB1_3 Depth=1
                                        ;     Parent Loop BB1_6 Depth=2
                                        ;       Parent Loop BB1_482 Depth=3
                                        ; =>      This Loop Header: Depth=4
                                        ;           Child Loop BB1_491 Depth 5
	v_mov_b32_e32 v3, 0
	s_delay_alu instid0(VALU_DEP_2)
	s_and_saveexec_b32 s35, s1
	s_cbranch_execz .LBB1_493
; %bb.490:                              ;   in Loop: Header=BB1_489 Depth=4
	s_lshl_b32 s2, s30, 2
	v_mov_b32_e32 v9, v2
	v_dual_mov_b32 v10, v38 :: v_dual_add_nc_u32 v3, s2, v36
	s_mov_b32 s36, 0
	scratch_load_b32 v8, v3, off
	v_mov_b32_e32 v3, 0
.LBB1_491:                              ;   Parent Loop BB1_3 Depth=1
                                        ;     Parent Loop BB1_6 Depth=2
                                        ;       Parent Loop BB1_482 Depth=3
                                        ;         Parent Loop BB1_489 Depth=4
                                        ; =>        This Inner Loop Header: Depth=5
	scratch_load_b32 v11, v10, off
	v_add_nc_u32_e32 v9, -1, v9
	v_add_nc_u32_e32 v10, 4, v10
	s_delay_alu instid0(VALU_DEP_2) | instskip(NEXT) | instid1(VALU_DEP_1)
	v_cmp_eq_u32_e64 s2, 0, v9
	s_or_b32 s36, s2, s36
	s_waitcnt vmcnt(0)
	v_cmp_ne_u32_e64 s3, v11, v8
	s_delay_alu instid0(VALU_DEP_1)
	v_cndmask_b32_e64 v3, 1, v3, s3
	s_and_not1_b32 exec_lo, exec_lo, s36
	s_cbranch_execnz .LBB1_491
; %bb.492:                              ;   in Loop: Header=BB1_489 Depth=4
	s_or_b32 exec_lo, exec_lo, s36
.LBB1_493:                              ;   in Loop: Header=BB1_489 Depth=4
	s_delay_alu instid0(SALU_CYCLE_1) | instskip(NEXT) | instid1(SALU_CYCLE_1)
	s_or_b32 exec_lo, exec_lo, s35
	s_and_not1_b32 s33, s33, exec_lo
	s_and_b32 s34, s34, exec_lo
	s_mov_b32 s3, -1
	s_or_b32 s33, s33, s34
	s_mov_b32 s35, exec_lo
                                        ; implicit-def: $sgpr34
	v_cmpx_ne_u32_e32 0, v3
	s_cbranch_execz .LBB1_488
; %bb.494:                              ;   in Loop: Header=BB1_489 Depth=4
	s_add_i32 s30, s30, 1
	s_and_not1_b32 s33, s33, exec_lo
	v_cmp_ge_u32_e64 s2, s30, v7
	v_cmp_eq_u32_e64 s3, s30, v7
	s_delay_alu instid0(VALU_DEP_2) | instskip(NEXT) | instid1(VALU_DEP_1)
	s_and_b32 s34, s2, exec_lo
	s_or_not1_b32 s3, s3, exec_lo
	s_or_b32 s33, s33, s34
	s_branch .LBB1_488
.LBB1_495:                              ;   in Loop: Header=BB1_482 Depth=3
	s_or_b32 exec_lo, exec_lo, s29
	v_cndmask_b32_e64 v2, 0, 1, s31
.LBB1_496:                              ;   in Loop: Header=BB1_482 Depth=3
	s_or_b32 exec_lo, exec_lo, s26
	s_delay_alu instid0(VALU_DEP_1) | instskip(SKIP_1) | instid1(VALU_DEP_1)
	v_cmp_eq_u32_e64 s1, 0, v2
	s_mov_b32 s26, -1
	s_or_not1_b32 s2, s1, exec_lo
.LBB1_497:                              ;   in Loop: Header=BB1_482 Depth=3
	s_or_b32 exec_lo, exec_lo, s27
	s_delay_alu instid0(SALU_CYCLE_1)
	s_and_b32 s27, s2, exec_lo
                                        ; implicit-def: $vgpr10
                                        ; implicit-def: $vgpr2_vgpr3
.LBB1_498:                              ;   in Loop: Header=BB1_482 Depth=3
	s_and_not1_saveexec_b32 s28, s28
	s_cbranch_execz .LBB1_513
; %bb.499:                              ;   in Loop: Header=BB1_482 Depth=3
	s_mov_b32 s29, exec_lo
	v_cmpx_eq_u32_e64 v10, v6
	s_cbranch_execz .LBB1_512
; %bb.500:                              ;   in Loop: Header=BB1_482 Depth=3
	s_clause 0x3
	global_load_b128 v[8:11], v[2:3], off
	global_load_b96 v[50:52], v[2:3], off offset:16
	global_load_b128 v[26:29], v[24:25], off offset:4
	global_load_u8 v53, v[24:25], off offset:24
	v_mov_b32_e32 v7, 1
	s_waitcnt vmcnt(3)
	scratch_store_b128 off, v[8:11], off offset:28
	s_waitcnt vmcnt(2)
	s_clause 0x1
	scratch_store_b32 off, v50, off offset:44
	scratch_store_b64 off, v[51:52], off offset:48
	s_waitcnt vmcnt(1)
	s_clause 0x1
	scratch_store_b128 off, v[26:29], off offset:4
	scratch_store_b32 off, v5, off offset:20
	s_waitcnt vmcnt(0)
	scratch_store_b8 off, v53, off offset:24
	s_and_saveexec_b32 s30, vcc_lo
	s_cbranch_execz .LBB1_510
; %bb.501:                              ;   in Loop: Header=BB1_482 Depth=3
	scratch_load_b32 v7, off, off offset:48
	s_mov_b32 s36, 0
	s_mov_b32 s31, 0
	;; [unrolled: 1-line block ×3, first 2 shown]
                                        ; implicit-def: $sgpr34
                                        ; implicit-def: $sgpr35
	s_waitcnt vmcnt(0)
	v_bfe_u32 v7, v7, 27, 4
	s_delay_alu instid0(VALU_DEP_1)
	v_cmp_ne_u32_e64 s1, 0, v7
	s_branch .LBB1_503
.LBB1_502:                              ;   in Loop: Header=BB1_503 Depth=4
	s_or_b32 exec_lo, exec_lo, s37
	s_delay_alu instid0(SALU_CYCLE_1) | instskip(NEXT) | instid1(SALU_CYCLE_1)
	s_and_b32 s2, exec_lo, s3
	s_or_b32 s31, s2, s31
	s_and_not1_b32 s2, s34, exec_lo
	s_and_b32 s3, s35, exec_lo
	s_delay_alu instid0(SALU_CYCLE_1)
	s_or_b32 s34, s2, s3
	s_and_not1_b32 exec_lo, exec_lo, s31
	s_cbranch_execz .LBB1_509
.LBB1_503:                              ;   Parent Loop BB1_3 Depth=1
                                        ;     Parent Loop BB1_6 Depth=2
                                        ;       Parent Loop BB1_482 Depth=3
                                        ; =>      This Loop Header: Depth=4
                                        ;           Child Loop BB1_505 Depth 5
	v_mov_b32_e32 v8, 0
	s_delay_alu instid0(VALU_DEP_2)
	s_and_saveexec_b32 s37, s1
	s_cbranch_execz .LBB1_507
; %bb.504:                              ;   in Loop: Header=BB1_503 Depth=4
	s_lshl_b32 s2, s33, 2
	v_mov_b32_e32 v10, v7
	v_dual_mov_b32 v11, v39 :: v_dual_add_nc_u32 v8, s2, v36
	s_mov_b32 s38, 0
	scratch_load_b32 v9, v8, off
	v_mov_b32_e32 v8, 0
.LBB1_505:                              ;   Parent Loop BB1_3 Depth=1
                                        ;     Parent Loop BB1_6 Depth=2
                                        ;       Parent Loop BB1_482 Depth=3
                                        ;         Parent Loop BB1_503 Depth=4
                                        ; =>        This Inner Loop Header: Depth=5
	scratch_load_b32 v26, v11, off
	v_add_nc_u32_e32 v10, -1, v10
	v_add_nc_u32_e32 v11, 4, v11
	s_delay_alu instid0(VALU_DEP_2) | instskip(NEXT) | instid1(VALU_DEP_1)
	v_cmp_eq_u32_e64 s2, 0, v10
	s_or_b32 s38, s2, s38
	s_waitcnt vmcnt(0)
	v_cmp_ne_u32_e64 s3, v26, v9
	s_delay_alu instid0(VALU_DEP_1)
	v_cndmask_b32_e64 v8, 1, v8, s3
	s_and_not1_b32 exec_lo, exec_lo, s38
	s_cbranch_execnz .LBB1_505
; %bb.506:                              ;   in Loop: Header=BB1_503 Depth=4
	s_or_b32 exec_lo, exec_lo, s38
.LBB1_507:                              ;   in Loop: Header=BB1_503 Depth=4
	s_delay_alu instid0(SALU_CYCLE_1) | instskip(NEXT) | instid1(SALU_CYCLE_1)
	s_or_b32 exec_lo, exec_lo, s37
	s_and_not1_b32 s35, s35, exec_lo
	s_and_b32 s36, s36, exec_lo
	s_mov_b32 s3, -1
	s_or_b32 s35, s35, s36
	s_mov_b32 s37, exec_lo
                                        ; implicit-def: $sgpr36
	v_cmpx_ne_u32_e32 0, v8
	s_cbranch_execz .LBB1_502
; %bb.508:                              ;   in Loop: Header=BB1_503 Depth=4
	s_add_i32 s33, s33, 1
	s_and_not1_b32 s35, s35, exec_lo
	v_cmp_ge_u32_e64 s2, s33, v4
	v_cmp_eq_u32_e64 s3, s33, v4
	s_delay_alu instid0(VALU_DEP_2) | instskip(NEXT) | instid1(VALU_DEP_1)
	s_and_b32 s36, s2, exec_lo
	s_or_not1_b32 s3, s3, exec_lo
	s_or_b32 s35, s35, s36
	s_branch .LBB1_502
.LBB1_509:                              ;   in Loop: Header=BB1_482 Depth=3
	s_or_b32 exec_lo, exec_lo, s31
	v_cndmask_b32_e64 v7, 0, 1, s34
.LBB1_510:                              ;   in Loop: Header=BB1_482 Depth=3
	s_or_b32 exec_lo, exec_lo, s30
	s_delay_alu instid0(VALU_DEP_1) | instskip(NEXT) | instid1(VALU_DEP_1)
	v_cmp_ne_u32_e64 s1, 0, v7
	s_and_b32 exec_lo, exec_lo, s1
	s_cbranch_execz .LBB1_512
; %bb.511:                              ;   in Loop: Header=BB1_482 Depth=3
	global_store_b8 v[2:3], v48, off offset:24
.LBB1_512:                              ;   in Loop: Header=BB1_482 Depth=3
	s_or_b32 exec_lo, exec_lo, s29
	s_delay_alu instid0(SALU_CYCLE_1)
	s_or_b32 s27, s27, exec_lo
.LBB1_513:                              ;   in Loop: Header=BB1_482 Depth=3
	s_or_b32 exec_lo, exec_lo, s28
	s_delay_alu instid0(SALU_CYCLE_1)
	s_or_not1_b32 s2, s27, exec_lo
.LBB1_514:                              ;   in Loop: Header=BB1_482 Depth=3
	s_or_b32 exec_lo, exec_lo, s25
	s_delay_alu instid0(SALU_CYCLE_1) | instskip(SKIP_1) | instid1(SALU_CYCLE_1)
	s_and_not1_b32 s0, s0, exec_lo
	s_and_b32 s1, s2, exec_lo
	s_or_b32 s0, s0, s1
.LBB1_515:                              ;   in Loop: Header=BB1_482 Depth=3
	s_or_b32 exec_lo, exec_lo, s24
	s_delay_alu instid0(SALU_CYCLE_1)
	s_and_not1_b32 s2, s23, exec_lo
	s_and_b32 s3, s26, exec_lo
	s_mov_b32 s1, -1
	s_or_b32 s23, s2, s3
	s_and_saveexec_b32 s2, s0
	s_cbranch_execz .LBB1_481
; %bb.516:                              ;   in Loop: Header=BB1_482 Depth=3
	s_add_i32 s22, s22, 1
	s_delay_alu instid0(SALU_CYCLE_1)
	s_cmp_eq_u32 s22, 8
	s_cselect_b32 s0, -1, 0
	s_and_not1_b32 s23, s23, exec_lo
	s_or_not1_b32 s1, s0, exec_lo
	s_branch .LBB1_481
.LBB1_517:                              ;   in Loop: Header=BB1_6 Depth=2
	s_or_b32 exec_lo, exec_lo, s20
	s_and_saveexec_b32 s0, s21
	s_delay_alu instid0(SALU_CYCLE_1)
	s_xor_b32 s0, exec_lo, s0
	s_cbranch_execz .LBB1_519
; %bb.518:                              ;   in Loop: Header=BB1_6 Depth=2
	global_store_b8 v[24:25], v48, off offset:24
.LBB1_519:                              ;   in Loop: Header=BB1_6 Depth=2
	s_or_b32 exec_lo, exec_lo, s0
.LBB1_520:                              ;   in Loop: Header=BB1_6 Depth=2
	s_delay_alu instid0(SALU_CYCLE_1) | instskip(SKIP_4) | instid1(VALU_DEP_2)
	s_or_b32 exec_lo, exec_lo, s19
	v_bfe_u32 v2, v5, 27, 4
	v_dual_mov_b32 v3, 0 :: v_dual_mov_b32 v4, 0
	s_mov_b32 s2, 0
	s_mov_b32 s1, exec_lo
	v_cmpx_ne_u32_e32 0, v2
	s_cbranch_execz .LBB1_524
; %bb.521:                              ;   in Loop: Header=BB1_6 Depth=2
	v_dual_mov_b32 v3, 0 :: v_dual_mov_b32 v6, v2
	v_mov_b32_e32 v4, 0
	.p2align	6
.LBB1_522:                              ;   Parent Loop BB1_3 Depth=1
                                        ;     Parent Loop BB1_6 Depth=2
                                        ; =>    This Inner Loop Header: Depth=3
	global_load_b32 v7, v[0:1], off
	v_add_nc_u32_e32 v6, -1, v6
	s_waitcnt vmcnt(0)
	v_ashrrev_i32_e32 v8, 31, v7
	s_delay_alu instid0(VALU_DEP_1) | instskip(NEXT) | instid1(VALU_DEP_1)
	v_lshlrev_b64 v[7:8], 2, v[7:8]
	v_add_co_u32 v7, vcc_lo, s12, v7
	s_delay_alu instid0(VALU_DEP_2)
	v_add_co_ci_u32_e32 v8, vcc_lo, s13, v8, vcc_lo
	v_add_co_u32 v0, vcc_lo, v0, 4
	v_add_co_ci_u32_e32 v1, vcc_lo, 0, v1, vcc_lo
	global_load_b32 v7, v[7:8], off
	v_cmp_eq_u32_e32 vcc_lo, 0, v6
	s_or_b32 s2, vcc_lo, s2
	s_waitcnt vmcnt(0)
	v_cmp_eq_u32_e64 s0, 1, v7
	v_add_nc_u32_e32 v4, v7, v4
	s_delay_alu instid0(VALU_DEP_2)
	v_add_co_ci_u32_e64 v3, s0, 0, v3, s0
	s_and_not1_b32 exec_lo, exec_lo, s2
	s_cbranch_execnz .LBB1_522
; %bb.523:                              ;   in Loop: Header=BB1_6 Depth=2
	s_or_b32 exec_lo, exec_lo, s2
.LBB1_524:                              ;   in Loop: Header=BB1_6 Depth=2
	s_delay_alu instid0(SALU_CYCLE_1) | instskip(SKIP_3) | instid1(VALU_DEP_2)
	s_or_b32 exec_lo, exec_lo, s1
	v_min_i32_e32 v0, 0x3e8, v4
	v_sub_nc_u32_e32 v1, 5, v3
	v_cmp_lt_u32_e32 vcc_lo, 3, v3
	v_cndmask_b32_e32 v0, v0, v1, vcc_lo
	v_cmp_lt_u32_e32 vcc_lo, 1, v2
	v_and_b32_e32 v1, 0x70000000, v5
	s_delay_alu instid0(VALU_DEP_3) | instskip(NEXT) | instid1(VALU_DEP_1)
	v_lshlrev_b32_e32 v0, 16, v0
	v_and_b32_e32 v0, 0x7ff0000, v0
	s_delay_alu instid0(VALU_DEP_1) | instskip(NEXT) | instid1(VALU_DEP_4)
	v_cndmask_b32_e32 v0, 0x3e90000, v0, vcc_lo
	v_cmp_eq_u32_e32 vcc_lo, 0, v1
	s_delay_alu instid0(VALU_DEP_2)
	v_and_or_b32 v0, 0xf800ffff, v5, v0
	v_cndmask_b32_e64 v8, 0, 1, vcc_lo
	global_store_b32 v[24:25], v0, off offset:20
.LBB1_525:                              ;   in Loop: Header=BB1_6 Depth=2
	s_or_b32 exec_lo, exec_lo, s18
.LBB1_526:                              ;   in Loop: Header=BB1_6 Depth=2
	s_delay_alu instid0(SALU_CYCLE_1)
	s_or_b32 exec_lo, exec_lo, s17
.LBB1_527:                              ;   in Loop: Header=BB1_6 Depth=2
	s_delay_alu instid0(SALU_CYCLE_1)
	s_or_b32 exec_lo, exec_lo, s16
	s_mov_b32 s1, -1
	s_mov_b32 s2, exec_lo
                                        ; implicit-def: $sgpr0
	v_cmpx_gt_i32_e32 7, v8
; %bb.528:                              ;   in Loop: Header=BB1_6 Depth=2
	v_cmp_eq_u32_e32 vcc_lo, 0, v8
	s_mov_b32 s0, -1
	s_or_not1_b32 s1, vcc_lo, exec_lo
; %bb.529:                              ;   in Loop: Header=BB1_6 Depth=2
	s_or_b32 exec_lo, exec_lo, s2
	s_delay_alu instid0(SALU_CYCLE_1)
	s_or_not1_b32 s1, s1, exec_lo
.LBB1_530:                              ;   in Loop: Header=BB1_6 Depth=2
	s_or_b32 exec_lo, exec_lo, s11
	s_and_saveexec_b32 s2, s1
	s_cbranch_execz .LBB1_5
; %bb.531:                              ;   in Loop: Header=BB1_6 Depth=2
	s_add_i32 s8, s8, 1
	s_delay_alu instid0(SALU_CYCLE_1)
	s_cmp_eq_u32 s8, 8
	s_cselect_b32 s1, -1, 0
	s_and_not1_b32 s0, s0, exec_lo
	s_or_not1_b32 s10, s1, exec_lo
	s_branch .LBB1_5
.LBB1_532:                              ;   in Loop: Header=BB1_3 Depth=1
	s_or_b32 exec_lo, exec_lo, s7
	s_delay_alu instid0(SALU_CYCLE_1)
	s_or_not1_b32 s0, s9, exec_lo
.LBB1_533:                              ;   in Loop: Header=BB1_3 Depth=1
	s_or_b32 exec_lo, exec_lo, s6
	s_mov_b32 s1, -1
	s_and_saveexec_b32 s2, s0
	s_cbranch_execz .LBB1_2
; %bb.534:                              ;   in Loop: Header=BB1_3 Depth=1
	s_add_i32 s5, s5, 1
	s_delay_alu instid0(SALU_CYCLE_1) | instskip(SKIP_1) | instid1(SALU_CYCLE_1)
	s_cmp_eq_u32 s5, 8
	s_cselect_b32 s0, -1, 0
	s_or_not1_b32 s1, s0, exec_lo
	s_branch .LBB1_2
.LBB1_535:
	s_endpgm
	.section	.rodata,"a",@progbits
	.p2align	6, 0x0
	.amdhsa_kernel _Z12CutEnumeratePiS_S_S_S_PN2rw3CutEii
		.amdhsa_group_segment_fixed_size 60416
		.amdhsa_private_segment_fixed_size 116
		.amdhsa_kernarg_size 312
		.amdhsa_user_sgpr_count 15
		.amdhsa_user_sgpr_dispatch_ptr 1
		.amdhsa_user_sgpr_queue_ptr 0
		.amdhsa_user_sgpr_kernarg_segment_ptr 1
		.amdhsa_user_sgpr_dispatch_id 0
		.amdhsa_user_sgpr_private_segment_size 0
		.amdhsa_wavefront_size32 1
		.amdhsa_uses_dynamic_stack 0
		.amdhsa_enable_private_segment 1
		.amdhsa_system_sgpr_workgroup_id_x 1
		.amdhsa_system_sgpr_workgroup_id_y 0
		.amdhsa_system_sgpr_workgroup_id_z 0
		.amdhsa_system_sgpr_workgroup_info 0
		.amdhsa_system_vgpr_workitem_id 2
		.amdhsa_next_free_vgpr 67
		.amdhsa_next_free_sgpr 41
		.amdhsa_reserve_vcc 1
		.amdhsa_float_round_mode_32 0
		.amdhsa_float_round_mode_16_64 0
		.amdhsa_float_denorm_mode_32 3
		.amdhsa_float_denorm_mode_16_64 3
		.amdhsa_dx10_clamp 1
		.amdhsa_ieee_mode 1
		.amdhsa_fp16_overflow 0
		.amdhsa_workgroup_processor_mode 1
		.amdhsa_memory_ordered 1
		.amdhsa_forward_progress 0
		.amdhsa_shared_vgpr_count 0
		.amdhsa_exception_fp_ieee_invalid_op 0
		.amdhsa_exception_fp_denorm_src 0
		.amdhsa_exception_fp_ieee_div_zero 0
		.amdhsa_exception_fp_ieee_overflow 0
		.amdhsa_exception_fp_ieee_underflow 0
		.amdhsa_exception_fp_ieee_inexact 0
		.amdhsa_exception_int_div_zero 0
	.end_amdhsa_kernel
	.text
.Lfunc_end1:
	.size	_Z12CutEnumeratePiS_S_S_S_PN2rw3CutEii, .Lfunc_end1-_Z12CutEnumeratePiS_S_S_S_PN2rw3CutEii
                                        ; -- End function
	.section	.AMDGPU.csdata,"",@progbits
; Kernel info:
; codeLenInByte = 14328
; NumSgprs: 43
; NumVgprs: 67
; ScratchSize: 116
; MemoryBound: 0
; FloatMode: 240
; IeeeMode: 1
; LDSByteSize: 60416 bytes/workgroup (compile time only)
; SGPRBlocks: 5
; VGPRBlocks: 8
; NumSGPRsForWavesPerEU: 43
; NumVGPRsForWavesPerEU: 67
; Occupancy: 16
; WaveLimiterHint : 1
; COMPUTE_PGM_RSRC2:SCRATCH_EN: 1
; COMPUTE_PGM_RSRC2:USER_SGPR: 15
; COMPUTE_PGM_RSRC2:TRAP_HANDLER: 0
; COMPUTE_PGM_RSRC2:TGID_X_EN: 1
; COMPUTE_PGM_RSRC2:TGID_Y_EN: 0
; COMPUTE_PGM_RSRC2:TGID_Z_EN: 0
; COMPUTE_PGM_RSRC2:TIDIG_COMP_CNT: 2
	.text
	.p2align	2                               ; -- Begin function _Z8CalcMFFCiPN2rw3CutEPiS2_S2_S2_S2_S2_i
	.type	_Z8CalcMFFCiPN2rw3CutEPiS2_S2_S2_S2_S2_i,@function
_Z8CalcMFFCiPN2rw3CutEPiS2_S2_S2_S2_S2_i: ; @_Z8CalcMFFCiPN2rw3CutEPiS2_S2_S2_S2_S2_i
; %bb.0:
	s_waitcnt vmcnt(0) expcnt(0) lgkmcnt(0)
	s_mov_b32 s0, s33
	s_mov_b32 s33, s32
	s_or_saveexec_b32 s1, -1
	scratch_store_b32 off, v79, s33 offset:92 ; 4-byte Folded Spill
	s_mov_b32 exec_lo, s1
	v_writelane_b32 v79, s0, 4
	s_addk_i32 s32, 0x70
	s_clause 0x16
	scratch_store_b32 off, v40, s33 offset:88
	; meta instruction
	scratch_store_b32 off, v41, s33 offset:84
	; meta instruction
	;; [unrolled: 2-line block ×22, first 2 shown]
	scratch_store_b32 off, v78, s33
	v_writelane_b32 v79, s34, 0
	v_writelane_b32 v79, s35, 1
	;; [unrolled: 1-line block ×4, first 2 shown]
	v_dual_mov_b32 v45, v2 :: v_dual_mov_b32 v44, v1
	v_dual_mov_b32 v41, v10 :: v_dual_mov_b32 v40, v9
	;; [unrolled: 1-line block ×3, first 2 shown]
	s_delay_alu instid0(VALU_DEP_3) | instskip(NEXT) | instid1(VALU_DEP_4)
	v_add_co_u32 v62, vcc_lo, v44, 4
	v_add_co_ci_u32_e32 v63, vcc_lo, 0, v45, vcc_lo
	s_delay_alu instid0(VALU_DEP_4)
	v_add_co_u32 v72, vcc_lo, v40, 4
	v_dual_mov_b32 v56, v12 :: v_dual_mov_b32 v57, v11
	v_dual_mov_b32 v43, v8 :: v_dual_mov_b32 v42, v7
	;; [unrolled: 1-line block ×4, first 2 shown]
	v_add_co_ci_u32_e32 v73, vcc_lo, 0, v41, vcc_lo
	v_mov_b32_e32 v3, 0
	v_mov_b32_e32 v75, 0
	s_mov_b32 s34, 0
	s_branch .LBB2_2
.LBB2_1:                                ;   in Loop: Header=BB2_2 Depth=1
	s_or_b32 exec_lo, exec_lo, s1
	s_delay_alu instid0(SALU_CYCLE_1) | instskip(NEXT) | instid1(SALU_CYCLE_1)
	s_and_b32 s0, exec_lo, s0
	s_or_b32 s34, s0, s34
	s_delay_alu instid0(SALU_CYCLE_1)
	s_and_not1_b32 exec_lo, exec_lo, s34
	s_cbranch_execz .LBB2_54
.LBB2_2:                                ; =>This Loop Header: Depth=1
                                        ;     Child Loop BB2_5 Depth 2
                                        ;     Child Loop BB2_13 Depth 2
	;; [unrolled: 1-line block ×4, first 2 shown]
	s_waitcnt vmcnt(0) lgkmcnt(0)
	v_ashrrev_i32_e32 v1, 31, v0
	flat_load_b32 v4, v[44:45] offset:20
	v_mov_b32_e32 v78, v3
	s_mov_b32 s0, -1
	s_mov_b32 s1, exec_lo
	v_lshlrev_b64 v[76:77], 2, v[0:1]
                                        ; implicit-def: $sgpr2
	s_delay_alu instid0(VALU_DEP_1) | instskip(NEXT) | instid1(VALU_DEP_2)
	v_add_co_u32 v0, vcc_lo, v61, v76
	v_add_co_ci_u32_e32 v1, vcc_lo, v60, v77, vcc_lo
	flat_load_b32 v2, v[0:1]
	s_waitcnt vmcnt(1) lgkmcnt(1)
	v_bfe_u32 v5, v4, 27, 4
	s_delay_alu instid0(VALU_DEP_1)
	v_cmpx_ne_u32_e32 0, v5
	s_cbranch_execz .LBB2_8
; %bb.3:                                ;   in Loop: Header=BB2_2 Depth=1
	v_dual_mov_b32 v3, v62 :: v_dual_mov_b32 v4, v63
	s_mov_b32 s2, 0
                                        ; implicit-def: $sgpr3
                                        ; implicit-def: $sgpr5
                                        ; implicit-def: $sgpr4
	s_set_inst_prefetch_distance 0x1
	s_branch .LBB2_5
	.p2align	6
.LBB2_4:                                ;   in Loop: Header=BB2_5 Depth=2
	s_or_b32 exec_lo, exec_lo, s6
	s_xor_b32 s0, s4, -1
	s_and_b32 s6, exec_lo, s5
	s_delay_alu instid0(SALU_CYCLE_1) | instskip(SKIP_2) | instid1(SALU_CYCLE_1)
	s_or_b32 s2, s6, s2
	s_and_not1_b32 s3, s3, exec_lo
	s_and_b32 s0, s0, exec_lo
	s_or_b32 s3, s3, s0
	s_and_not1_b32 exec_lo, exec_lo, s2
	s_cbranch_execz .LBB2_7
.LBB2_5:                                ;   Parent Loop BB2_2 Depth=1
                                        ; =>  This Inner Loop Header: Depth=2
	flat_load_b32 v6, v[3:4]
	s_or_b32 s4, s4, exec_lo
	s_or_b32 s5, s5, exec_lo
	s_mov_b32 s6, exec_lo
	s_waitcnt vmcnt(0) lgkmcnt(0)
	v_cmpx_ne_u32_e64 v6, v2
	s_cbranch_execz .LBB2_4
; %bb.6:                                ;   in Loop: Header=BB2_5 Depth=2
	v_add_nc_u32_e32 v5, -1, v5
	v_add_co_u32 v3, s0, v3, 4
	s_delay_alu instid0(VALU_DEP_1) | instskip(NEXT) | instid1(VALU_DEP_3)
	v_add_co_ci_u32_e64 v4, s0, 0, v4, s0
	v_cmp_eq_u32_e32 vcc_lo, 0, v5
	s_and_not1_b32 s0, s5, exec_lo
	s_and_not1_b32 s4, s4, exec_lo
	s_and_b32 s5, vcc_lo, exec_lo
	s_delay_alu instid0(SALU_CYCLE_1)
	s_or_b32 s5, s0, s5
	s_branch .LBB2_4
.LBB2_7:                                ;   in Loop: Header=BB2_2 Depth=1
	s_set_inst_prefetch_distance 0x2
	s_or_b32 exec_lo, exec_lo, s2
	s_mov_b32 s2, 1
	s_or_not1_b32 s0, s3, exec_lo
.LBB2_8:                                ;   in Loop: Header=BB2_2 Depth=1
	s_or_b32 exec_lo, exec_lo, s1
	v_mov_b32_e32 v6, s2
	s_and_saveexec_b32 s1, s0
	s_cbranch_execz .LBB2_26
; %bb.9:                                ;   in Loop: Header=BB2_2 Depth=1
	flat_load_b32 v5, v[42:43]
	v_mov_b32_e32 v6, 1
	s_mov_b32 s0, 0
	s_mov_b32 s2, exec_lo
	s_waitcnt vmcnt(0) lgkmcnt(0)
	v_cmpx_lt_i32_e32 0, v5
	s_cbranch_execz .LBB2_21
; %bb.10:                               ;   in Loop: Header=BB2_2 Depth=1
	flat_load_b32 v6, v[40:41]
	v_mov_b32_e32 v3, 0
	v_mov_b32_e32 v4, 0
	s_mov_b32 s6, -1
	s_mov_b32 s4, -1
	s_mov_b32 s3, exec_lo
                                        ; implicit-def: $sgpr5
                                        ; implicit-def: $sgpr0
	s_waitcnt vmcnt(0) lgkmcnt(0)
	v_cmpx_ne_u32_e64 v6, v2
	s_cbranch_execz .LBB2_18
; %bb.11:                               ;   in Loop: Header=BB2_2 Depth=1
	v_dual_mov_b32 v3, v72 :: v_dual_add_nc_u32 v6, -1, v5
	v_mov_b32_e32 v4, v73
	s_mov_b32 s5, 0
	s_mov_b32 s6, 0
                                        ; implicit-def: $sgpr4
                                        ; implicit-def: $sgpr8
                                        ; implicit-def: $sgpr7
	s_set_inst_prefetch_distance 0x1
	s_branch .LBB2_13
	.p2align	6
.LBB2_12:                               ;   in Loop: Header=BB2_13 Depth=2
	s_or_b32 exec_lo, exec_lo, s9
	s_xor_b32 s0, s7, -1
	s_and_b32 s9, exec_lo, s8
	v_mov_b32_e32 v74, s6
	s_or_b32 s5, s9, s5
	s_and_not1_b32 s4, s4, exec_lo
	s_and_b32 s0, s0, exec_lo
	s_delay_alu instid0(SALU_CYCLE_1)
	s_or_b32 s4, s4, s0
	s_and_not1_b32 exec_lo, exec_lo, s5
	s_cbranch_execz .LBB2_15
.LBB2_13:                               ;   Parent Loop BB2_2 Depth=1
                                        ; =>  This Inner Loop Header: Depth=2
	s_or_b32 s7, s7, exec_lo
	s_or_b32 s8, s8, exec_lo
	s_mov_b32 s9, exec_lo
	v_cmpx_ne_u32_e64 s6, v6
	s_cbranch_execz .LBB2_12
; %bb.14:                               ;   in Loop: Header=BB2_13 Depth=2
	flat_load_b32 v7, v[3:4]
	v_add_co_u32 v3, s0, v3, 4
	s_delay_alu instid0(VALU_DEP_1)
	v_add_co_ci_u32_e64 v4, s0, 0, v4, s0
	s_and_not1_b32 s0, s8, exec_lo
	s_add_i32 s6, s6, 1
	s_and_not1_b32 s7, s7, exec_lo
	s_waitcnt vmcnt(0) lgkmcnt(0)
	v_cmp_eq_u32_e32 vcc_lo, v7, v2
	s_and_b32 s8, vcc_lo, exec_lo
	s_delay_alu instid0(SALU_CYCLE_1)
	s_or_b32 s8, s0, s8
	s_branch .LBB2_12
.LBB2_15:                               ;   in Loop: Header=BB2_2 Depth=1
	s_set_inst_prefetch_distance 0x2
	s_or_b32 exec_lo, exec_lo, s5
	v_mov_b32_e32 v3, 0
	v_mov_b32_e32 v4, 0
	s_mov_b32 s6, -1
	s_mov_b32 s0, 0
	s_mov_b32 s5, 1
	s_and_saveexec_b32 s7, s4
	s_delay_alu instid0(SALU_CYCLE_1)
	s_xor_b32 s4, exec_lo, s7
; %bb.16:                               ;   in Loop: Header=BB2_2 Depth=1
	v_cmp_lt_i32_e32 vcc_lo, v74, v5
	v_dual_mov_b32 v3, v74 :: v_dual_mov_b32 v4, v75
	s_mov_b32 s0, exec_lo
                                        ; implicit-def: $sgpr5
	s_or_not1_b32 s6, vcc_lo, exec_lo
; %bb.17:                               ;   in Loop: Header=BB2_2 Depth=1
	s_or_b32 exec_lo, exec_lo, s4
	s_delay_alu instid0(SALU_CYCLE_1)
	s_or_not1_b32 s4, s6, exec_lo
	s_or_not1_b32 s6, s0, exec_lo
.LBB2_18:                               ;   in Loop: Header=BB2_2 Depth=1
	s_or_b32 exec_lo, exec_lo, s3
	v_mov_b32_e32 v6, s5
	s_and_saveexec_b32 s3, s6
	s_cbranch_execz .LBB2_20
; %bb.19:                               ;   in Loop: Header=BB2_2 Depth=1
	v_lshlrev_b64 v[3:4], 2, v[3:4]
	s_and_not1_b32 s0, s0, exec_lo
	s_and_b32 s4, s4, exec_lo
	s_delay_alu instid0(SALU_CYCLE_1) | instskip(NEXT) | instid1(VALU_DEP_1)
	s_or_b32 s0, s0, s4
	v_add_co_u32 v3, vcc_lo, v57, v3
	s_delay_alu instid0(VALU_DEP_2)
	v_add_co_ci_u32_e32 v4, vcc_lo, v56, v4, vcc_lo
	flat_load_b32 v5, v[3:4]
	s_waitcnt vmcnt(0) lgkmcnt(0)
	v_add_nc_u32_e32 v6, -1, v5
	flat_store_b32 v[3:4], v6
.LBB2_20:                               ;   in Loop: Header=BB2_2 Depth=1
	s_or_b32 exec_lo, exec_lo, s3
	s_delay_alu instid0(SALU_CYCLE_1)
	s_and_b32 s0, s0, exec_lo
.LBB2_21:                               ;   in Loop: Header=BB2_2 Depth=1
	s_or_b32 exec_lo, exec_lo, s2
	s_xor_b32 s2, s0, -1
	s_delay_alu instid0(SALU_CYCLE_1)
	s_and_saveexec_b32 s0, s2
	s_cbranch_execz .LBB2_25
; %bb.22:                               ;   in Loop: Header=BB2_2 Depth=1
	flat_load_b32 v3, v[42:43]
	v_mov_b32_e32 v6, 1
	s_mov_b32 s2, exec_lo
	s_waitcnt vmcnt(0) lgkmcnt(0)
	v_cmpx_ne_u32_e32 8, v3
	s_cbranch_execz .LBB2_24
; %bb.23:                               ;   in Loop: Header=BB2_2 Depth=1
	v_ashrrev_i32_e32 v4, 31, v3
	s_delay_alu instid0(VALU_DEP_1) | instskip(SKIP_1) | instid1(VALU_DEP_1)
	v_lshlrev_b64 v[4:5], 2, v[3:4]
	v_ashrrev_i32_e32 v3, 31, v2
	v_lshlrev_b64 v[6:7], 2, v[2:3]
	s_delay_alu instid0(VALU_DEP_3) | instskip(NEXT) | instid1(VALU_DEP_4)
	v_add_co_u32 v4, vcc_lo, v40, v4
	v_add_co_ci_u32_e32 v5, vcc_lo, v41, v5, vcc_lo
	flat_store_b32 v[4:5], v2
	flat_load_b32 v2, v[42:43]
	v_add_co_u32 v4, vcc_lo, v47, v6
	v_add_co_ci_u32_e32 v5, vcc_lo, v46, v7, vcc_lo
	flat_load_b32 v6, v[4:5]
	s_waitcnt vmcnt(1) lgkmcnt(1)
	v_ashrrev_i32_e32 v3, 31, v2
	s_delay_alu instid0(VALU_DEP_1) | instskip(SKIP_2) | instid1(VALU_DEP_2)
	v_lshlrev_b64 v[2:3], 2, v[2:3]
	s_waitcnt vmcnt(0) lgkmcnt(0)
	v_add_nc_u32_e32 v6, -1, v6
	v_add_co_u32 v2, vcc_lo, v57, v2
	s_delay_alu instid0(VALU_DEP_3)
	v_add_co_ci_u32_e32 v3, vcc_lo, v56, v3, vcc_lo
	flat_store_b32 v[2:3], v6
	flat_load_b32 v2, v[42:43]
	s_waitcnt vmcnt(0) lgkmcnt(0)
	v_add_nc_u32_e32 v2, 1, v2
	flat_store_b32 v[42:43], v2
	flat_load_b32 v2, v[4:5]
	s_waitcnt vmcnt(0) lgkmcnt(0)
	v_add_nc_u32_e32 v6, -1, v2
.LBB2_24:                               ;   in Loop: Header=BB2_2 Depth=1
	s_or_b32 exec_lo, exec_lo, s2
.LBB2_25:                               ;   in Loop: Header=BB2_2 Depth=1
	s_delay_alu instid0(SALU_CYCLE_1)
	s_or_b32 exec_lo, exec_lo, s0
.LBB2_26:                               ;   in Loop: Header=BB2_2 Depth=1
	s_delay_alu instid0(SALU_CYCLE_1) | instskip(NEXT) | instid1(VALU_DEP_1)
	s_or_b32 exec_lo, exec_lo, s1
	v_cmp_eq_u32_e32 vcc_lo, 0, v6
	v_mov_b32_e32 v6, 1
	s_and_saveexec_b32 s35, vcc_lo
	s_cbranch_execz .LBB2_28
; %bb.27:                               ;   in Loop: Header=BB2_2 Depth=1
	flat_load_b32 v0, v[0:1]
	s_waitcnt vmcnt(1) lgkmcnt(1)
	v_dual_mov_b32 v1, v44 :: v_dual_mov_b32 v2, v45
	v_dual_mov_b32 v3, v61 :: v_dual_mov_b32 v4, v60
	;; [unrolled: 1-line block ×7, first 2 shown]
	s_getpc_b64 s[0:1]
	s_add_u32 s0, s0, _Z8CalcMFFCiPN2rw3CutEPiS2_S2_S2_S2_S2_i@rel32@lo+4
	s_addc_u32 s1, s1, _Z8CalcMFFCiPN2rw3CutEPiS2_S2_S2_S2_S2_i@rel32@hi+12
	s_delay_alu instid0(SALU_CYCLE_1)
	s_swappc_b64 s[30:31], s[0:1]
	v_add_nc_u32_e32 v6, 1, v0
.LBB2_28:                               ;   in Loop: Header=BB2_2 Depth=1
	s_or_b32 exec_lo, exec_lo, s35
	v_add_co_u32 v1, vcc_lo, v59, v76
	flat_load_b32 v0, v[44:45] offset:20
	s_waitcnt vmcnt(1) lgkmcnt(1)
	v_add_co_ci_u32_e32 v2, vcc_lo, v58, v77, vcc_lo
	s_mov_b32 s0, -1
	s_mov_b32 s1, exec_lo
                                        ; implicit-def: $sgpr2
	flat_load_b32 v3, v[1:2]
	s_waitcnt vmcnt(1) lgkmcnt(1)
	v_bfe_u32 v0, v0, 27, 4
	s_delay_alu instid0(VALU_DEP_1)
	v_cmpx_ne_u32_e32 0, v0
	s_cbranch_execz .LBB2_34
; %bb.29:                               ;   in Loop: Header=BB2_2 Depth=1
	v_dual_mov_b32 v4, v62 :: v_dual_mov_b32 v5, v63
	s_mov_b32 s2, 0
                                        ; implicit-def: $sgpr3
                                        ; implicit-def: $sgpr5
                                        ; implicit-def: $sgpr4
	s_set_inst_prefetch_distance 0x1
	s_branch .LBB2_31
	.p2align	6
.LBB2_30:                               ;   in Loop: Header=BB2_31 Depth=2
	s_or_b32 exec_lo, exec_lo, s6
	s_xor_b32 s0, s4, -1
	s_and_b32 s6, exec_lo, s5
	s_delay_alu instid0(SALU_CYCLE_1) | instskip(SKIP_2) | instid1(SALU_CYCLE_1)
	s_or_b32 s2, s6, s2
	s_and_not1_b32 s3, s3, exec_lo
	s_and_b32 s0, s0, exec_lo
	s_or_b32 s3, s3, s0
	s_and_not1_b32 exec_lo, exec_lo, s2
	s_cbranch_execz .LBB2_33
.LBB2_31:                               ;   Parent Loop BB2_2 Depth=1
                                        ; =>  This Inner Loop Header: Depth=2
	flat_load_b32 v7, v[4:5]
	s_or_b32 s4, s4, exec_lo
	s_or_b32 s5, s5, exec_lo
	s_mov_b32 s6, exec_lo
	s_waitcnt vmcnt(0) lgkmcnt(0)
	v_cmpx_ne_u32_e64 v7, v3
	s_cbranch_execz .LBB2_30
; %bb.32:                               ;   in Loop: Header=BB2_31 Depth=2
	v_add_nc_u32_e32 v0, -1, v0
	v_add_co_u32 v4, s0, v4, 4
	s_delay_alu instid0(VALU_DEP_1) | instskip(NEXT) | instid1(VALU_DEP_3)
	v_add_co_ci_u32_e64 v5, s0, 0, v5, s0
	v_cmp_eq_u32_e32 vcc_lo, 0, v0
	s_and_not1_b32 s0, s5, exec_lo
	s_and_not1_b32 s4, s4, exec_lo
	s_and_b32 s5, vcc_lo, exec_lo
	s_delay_alu instid0(SALU_CYCLE_1)
	s_or_b32 s5, s0, s5
	s_branch .LBB2_30
.LBB2_33:                               ;   in Loop: Header=BB2_2 Depth=1
	s_set_inst_prefetch_distance 0x2
	s_or_b32 exec_lo, exec_lo, s2
	s_mov_b32 s2, 1
	s_or_not1_b32 s0, s3, exec_lo
.LBB2_34:                               ;   in Loop: Header=BB2_2 Depth=1
	s_or_b32 exec_lo, exec_lo, s1
	v_mov_b32_e32 v7, s2
	s_and_saveexec_b32 s1, s0
	s_cbranch_execz .LBB2_52
; %bb.35:                               ;   in Loop: Header=BB2_2 Depth=1
	flat_load_b32 v0, v[42:43]
	v_mov_b32_e32 v7, 1
	s_mov_b32 s0, 0
	s_mov_b32 s2, exec_lo
	s_waitcnt vmcnt(0) lgkmcnt(0)
	v_cmpx_lt_i32_e32 0, v0
	s_cbranch_execz .LBB2_47
; %bb.36:                               ;   in Loop: Header=BB2_2 Depth=1
	flat_load_b32 v7, v[40:41]
	v_mov_b32_e32 v4, 0
	v_mov_b32_e32 v5, 0
	s_mov_b32 s6, -1
	s_mov_b32 s4, -1
	s_mov_b32 s3, exec_lo
                                        ; implicit-def: $sgpr5
                                        ; implicit-def: $sgpr0
	s_waitcnt vmcnt(0) lgkmcnt(0)
	v_cmpx_ne_u32_e64 v7, v3
	s_cbranch_execz .LBB2_44
; %bb.37:                               ;   in Loop: Header=BB2_2 Depth=1
	v_dual_mov_b32 v4, v72 :: v_dual_add_nc_u32 v7, -1, v0
	v_mov_b32_e32 v5, v73
	s_mov_b32 s5, 0
	s_mov_b32 s6, 0
                                        ; implicit-def: $sgpr4
                                        ; implicit-def: $sgpr8
                                        ; implicit-def: $sgpr7
	s_set_inst_prefetch_distance 0x1
	s_branch .LBB2_39
	.p2align	6
.LBB2_38:                               ;   in Loop: Header=BB2_39 Depth=2
	s_or_b32 exec_lo, exec_lo, s9
	s_xor_b32 s0, s7, -1
	s_and_b32 s9, exec_lo, s8
	v_mov_b32_e32 v74, s6
	s_or_b32 s5, s9, s5
	s_and_not1_b32 s4, s4, exec_lo
	s_and_b32 s0, s0, exec_lo
	s_delay_alu instid0(SALU_CYCLE_1)
	s_or_b32 s4, s4, s0
	s_and_not1_b32 exec_lo, exec_lo, s5
	s_cbranch_execz .LBB2_41
.LBB2_39:                               ;   Parent Loop BB2_2 Depth=1
                                        ; =>  This Inner Loop Header: Depth=2
	s_or_b32 s7, s7, exec_lo
	s_or_b32 s8, s8, exec_lo
	s_mov_b32 s9, exec_lo
	v_cmpx_ne_u32_e64 s6, v7
	s_cbranch_execz .LBB2_38
; %bb.40:                               ;   in Loop: Header=BB2_39 Depth=2
	flat_load_b32 v8, v[4:5]
	v_add_co_u32 v4, s0, v4, 4
	s_delay_alu instid0(VALU_DEP_1)
	v_add_co_ci_u32_e64 v5, s0, 0, v5, s0
	s_and_not1_b32 s0, s8, exec_lo
	s_add_i32 s6, s6, 1
	s_and_not1_b32 s7, s7, exec_lo
	s_waitcnt vmcnt(0) lgkmcnt(0)
	v_cmp_eq_u32_e32 vcc_lo, v8, v3
	s_and_b32 s8, vcc_lo, exec_lo
	s_delay_alu instid0(SALU_CYCLE_1)
	s_or_b32 s8, s0, s8
	s_branch .LBB2_38
.LBB2_41:                               ;   in Loop: Header=BB2_2 Depth=1
	s_set_inst_prefetch_distance 0x2
	s_or_b32 exec_lo, exec_lo, s5
	v_mov_b32_e32 v4, 0
	v_mov_b32_e32 v5, 0
	s_mov_b32 s6, -1
	s_mov_b32 s0, 0
	s_mov_b32 s5, 1
	s_and_saveexec_b32 s7, s4
	s_delay_alu instid0(SALU_CYCLE_1)
	s_xor_b32 s4, exec_lo, s7
; %bb.42:                               ;   in Loop: Header=BB2_2 Depth=1
	v_cmp_lt_i32_e32 vcc_lo, v74, v0
	v_dual_mov_b32 v4, v74 :: v_dual_mov_b32 v5, v75
	s_mov_b32 s0, exec_lo
                                        ; implicit-def: $sgpr5
	s_or_not1_b32 s6, vcc_lo, exec_lo
; %bb.43:                               ;   in Loop: Header=BB2_2 Depth=1
	s_or_b32 exec_lo, exec_lo, s4
	s_delay_alu instid0(SALU_CYCLE_1)
	s_or_not1_b32 s4, s6, exec_lo
	s_or_not1_b32 s6, s0, exec_lo
.LBB2_44:                               ;   in Loop: Header=BB2_2 Depth=1
	s_or_b32 exec_lo, exec_lo, s3
	v_mov_b32_e32 v7, s5
	s_and_saveexec_b32 s3, s6
	s_cbranch_execz .LBB2_46
; %bb.45:                               ;   in Loop: Header=BB2_2 Depth=1
	v_lshlrev_b64 v[4:5], 2, v[4:5]
	s_and_not1_b32 s0, s0, exec_lo
	s_and_b32 s4, s4, exec_lo
	s_delay_alu instid0(SALU_CYCLE_1) | instskip(NEXT) | instid1(VALU_DEP_1)
	s_or_b32 s0, s0, s4
	v_add_co_u32 v4, vcc_lo, v57, v4
	s_delay_alu instid0(VALU_DEP_2)
	v_add_co_ci_u32_e32 v5, vcc_lo, v56, v5, vcc_lo
	flat_load_b32 v0, v[4:5]
	s_waitcnt vmcnt(0) lgkmcnt(0)
	v_add_nc_u32_e32 v7, -1, v0
	flat_store_b32 v[4:5], v7
.LBB2_46:                               ;   in Loop: Header=BB2_2 Depth=1
	s_or_b32 exec_lo, exec_lo, s3
	s_delay_alu instid0(SALU_CYCLE_1)
	s_and_b32 s0, s0, exec_lo
.LBB2_47:                               ;   in Loop: Header=BB2_2 Depth=1
	s_or_b32 exec_lo, exec_lo, s2
	s_xor_b32 s2, s0, -1
	s_delay_alu instid0(SALU_CYCLE_1)
	s_and_saveexec_b32 s0, s2
	s_cbranch_execz .LBB2_51
; %bb.48:                               ;   in Loop: Header=BB2_2 Depth=1
	flat_load_b32 v4, v[42:43]
	v_mov_b32_e32 v7, 1
	s_mov_b32 s2, exec_lo
	s_waitcnt vmcnt(0) lgkmcnt(0)
	v_cmpx_ne_u32_e32 8, v4
	s_cbranch_execz .LBB2_50
; %bb.49:                               ;   in Loop: Header=BB2_2 Depth=1
	v_ashrrev_i32_e32 v5, 31, v4
	s_delay_alu instid0(VALU_DEP_1) | instskip(SKIP_1) | instid1(VALU_DEP_1)
	v_lshlrev_b64 v[7:8], 2, v[4:5]
	v_ashrrev_i32_e32 v4, 31, v3
	v_lshlrev_b64 v[4:5], 2, v[3:4]
	s_delay_alu instid0(VALU_DEP_3) | instskip(NEXT) | instid1(VALU_DEP_4)
	v_add_co_u32 v7, vcc_lo, v40, v7
	v_add_co_ci_u32_e32 v8, vcc_lo, v41, v8, vcc_lo
	flat_store_b32 v[7:8], v3
	flat_load_b32 v3, v[42:43]
	v_add_co_u32 v7, vcc_lo, v47, v4
	v_add_co_ci_u32_e32 v8, vcc_lo, v46, v5, vcc_lo
	flat_load_b32 v0, v[7:8]
	s_waitcnt vmcnt(1) lgkmcnt(1)
	v_ashrrev_i32_e32 v4, 31, v3
	s_delay_alu instid0(VALU_DEP_1) | instskip(SKIP_2) | instid1(VALU_DEP_2)
	v_lshlrev_b64 v[3:4], 2, v[3:4]
	s_waitcnt vmcnt(0) lgkmcnt(0)
	v_add_nc_u32_e32 v0, -1, v0
	v_add_co_u32 v3, vcc_lo, v57, v3
	s_delay_alu instid0(VALU_DEP_3)
	v_add_co_ci_u32_e32 v4, vcc_lo, v56, v4, vcc_lo
	flat_store_b32 v[3:4], v0
	flat_load_b32 v0, v[42:43]
	s_waitcnt vmcnt(0) lgkmcnt(0)
	v_add_nc_u32_e32 v0, 1, v0
	flat_store_b32 v[42:43], v0
	flat_load_b32 v0, v[7:8]
	s_waitcnt vmcnt(0) lgkmcnt(0)
	v_add_nc_u32_e32 v7, -1, v0
.LBB2_50:                               ;   in Loop: Header=BB2_2 Depth=1
	s_or_b32 exec_lo, exec_lo, s2
.LBB2_51:                               ;   in Loop: Header=BB2_2 Depth=1
	s_delay_alu instid0(SALU_CYCLE_1)
	s_or_b32 exec_lo, exec_lo, s0
.LBB2_52:                               ;   in Loop: Header=BB2_2 Depth=1
	s_delay_alu instid0(SALU_CYCLE_1)
	s_or_b32 exec_lo, exec_lo, s1
	s_mov_b32 s0, -1
	s_mov_b32 s1, exec_lo
                                        ; implicit-def: $vgpr0
                                        ; implicit-def: $vgpr3
	v_cmpx_eq_u32_e32 0, v7
	s_cbranch_execz .LBB2_1
; %bb.53:                               ;   in Loop: Header=BB2_2 Depth=1
	flat_load_b32 v0, v[1:2]
	s_waitcnt vmcnt(1) lgkmcnt(1)
	v_add_nc_u32_e32 v3, v6, v78
	s_xor_b32 s0, exec_lo, -1
	s_branch .LBB2_1
.LBB2_54:
	s_or_b32 exec_lo, exec_lo, s34
	s_waitcnt vmcnt(0) lgkmcnt(0)
	v_add_nc_u32_e32 v0, v6, v78
	s_clause 0x16
	scratch_load_b32 v78, off, s33
	scratch_load_b32 v77, off, s33 offset:4
	scratch_load_b32 v76, off, s33 offset:8
	;; [unrolled: 1-line block ×22, first 2 shown]
	v_readlane_b32 s30, v79, 2
	v_readlane_b32 s31, v79, 3
	v_readlane_b32 s35, v79, 1
	v_readlane_b32 s34, v79, 0
	v_readlane_b32 s0, v79, 4
	s_or_saveexec_b32 s1, -1
	scratch_load_b32 v79, off, s33 offset:92 ; 4-byte Folded Reload
	s_mov_b32 exec_lo, s1
	s_addk_i32 s32, 0xff90
	s_mov_b32 s33, s0
	s_waitcnt vmcnt(0)
	s_setpc_b64 s[30:31]
.Lfunc_end2:
	.size	_Z8CalcMFFCiPN2rw3CutEPiS2_S2_S2_S2_S2_i, .Lfunc_end2-_Z8CalcMFFCiPN2rw3CutEPiS2_S2_S2_S2_S2_i
                                        ; -- End function
	.section	.AMDGPU.csdata,"",@progbits
; Function info:
; codeLenInByte = 2620
; NumSgprs: 38
; NumVgprs: 80
; ScratchSize: 112
; MemoryBound: 0
	.text
	.p2align	2                               ; -- Begin function __ockl_fprintf_append_string_n
	.type	__ockl_fprintf_append_string_n,@function
__ockl_fprintf_append_string_n:         ; @__ockl_fprintf_append_string_n
; %bb.0:
	s_waitcnt vmcnt(0) expcnt(0) lgkmcnt(0)
	v_dual_mov_b32 v8, v3 :: v_dual_mov_b32 v7, v2
	v_or_b32_e32 v2, 2, v0
	v_cmp_eq_u32_e32 vcc_lo, 0, v6
	v_mbcnt_lo_u32_b32 v33, -1, 0
	s_mov_b32 s11, 0
	s_mov_b32 s0, exec_lo
	v_cndmask_b32_e32 v0, v2, v0, vcc_lo
	v_cmpx_ne_u64_e32 0, v[7:8]
	s_xor_b32 s10, exec_lo, s0
	s_cbranch_execz .LBB3_86
; %bb.1:
	s_load_b64 s[2:3], s[8:9], 0x50
	v_dual_mov_b32 v11, 2 :: v_dual_and_b32 v6, 2, v0
	v_mov_b32_e32 v10, 0
	v_and_b32_e32 v0, -3, v0
	v_mov_b32_e32 v12, 1
	s_mov_b32 s12, 0
	s_branch .LBB3_3
.LBB3_2:                                ;   in Loop: Header=BB3_3 Depth=1
	s_or_b32 exec_lo, exec_lo, s1
	v_sub_co_u32 v4, vcc_lo, v4, v29
	v_sub_co_ci_u32_e32 v5, vcc_lo, v5, v30, vcc_lo
	v_add_co_u32 v7, s0, v7, v29
	s_delay_alu instid0(VALU_DEP_1) | instskip(NEXT) | instid1(VALU_DEP_3)
	v_add_co_ci_u32_e64 v8, s0, v8, v30, s0
	v_cmp_eq_u64_e32 vcc_lo, 0, v[4:5]
	s_or_b32 s12, vcc_lo, s12
	s_delay_alu instid0(SALU_CYCLE_1)
	s_and_not1_b32 exec_lo, exec_lo, s12
	s_cbranch_execz .LBB3_85
.LBB3_3:                                ; =>This Loop Header: Depth=1
                                        ;     Child Loop BB3_6 Depth 2
                                        ;     Child Loop BB3_14 Depth 2
	;; [unrolled: 1-line block ×11, first 2 shown]
	v_cmp_gt_u64_e32 vcc_lo, 56, v[4:5]
	s_mov_b32 s1, exec_lo
                                        ; implicit-def: $vgpr2_vgpr3
                                        ; implicit-def: $sgpr4
	v_dual_cndmask_b32 v30, 0, v5 :: v_dual_cndmask_b32 v29, 56, v4
	v_cmpx_gt_u64_e32 8, v[4:5]
	s_xor_b32 s1, exec_lo, s1
	s_cbranch_execz .LBB3_9
; %bb.4:                                ;   in Loop: Header=BB3_3 Depth=1
	s_waitcnt vmcnt(0)
	v_mov_b32_e32 v2, 0
	v_mov_b32_e32 v3, 0
	s_mov_b64 s[4:5], 0
	s_mov_b32 s6, exec_lo
	v_cmpx_ne_u64_e32 0, v[4:5]
	s_cbranch_execz .LBB3_8
; %bb.5:                                ;   in Loop: Header=BB3_3 Depth=1
	v_lshlrev_b64 v[13:14], 3, v[29:30]
	v_dual_mov_b32 v2, 0 :: v_dual_mov_b32 v15, v8
	v_dual_mov_b32 v3, 0 :: v_dual_mov_b32 v14, v7
	s_mov_b32 s7, 0
	.p2align	6
.LBB3_6:                                ;   Parent Loop BB3_3 Depth=1
                                        ; =>  This Inner Loop Header: Depth=2
	flat_load_u8 v9, v[14:15]
	v_mov_b32_e32 v17, s11
	v_add_co_u32 v14, vcc_lo, v14, 1
	v_add_co_ci_u32_e32 v15, vcc_lo, 0, v15, vcc_lo
	s_waitcnt vmcnt(0) lgkmcnt(0)
	v_and_b32_e32 v16, 0xffff, v9
	s_delay_alu instid0(VALU_DEP_1) | instskip(SKIP_3) | instid1(VALU_DEP_2)
	v_lshlrev_b64 v[16:17], s4, v[16:17]
	s_add_u32 s4, s4, 8
	s_addc_u32 s5, s5, 0
	v_cmp_eq_u32_e64 s0, s4, v13
	v_or_b32_e32 v3, v17, v3
	s_delay_alu instid0(VALU_DEP_3) | instskip(NEXT) | instid1(VALU_DEP_3)
	v_or_b32_e32 v2, v16, v2
	s_or_b32 s7, s0, s7
	s_delay_alu instid0(SALU_CYCLE_1)
	s_and_not1_b32 exec_lo, exec_lo, s7
	s_cbranch_execnz .LBB3_6
; %bb.7:                                ;   in Loop: Header=BB3_3 Depth=1
	s_or_b32 exec_lo, exec_lo, s7
.LBB3_8:                                ;   in Loop: Header=BB3_3 Depth=1
	s_delay_alu instid0(SALU_CYCLE_1)
	s_or_b32 exec_lo, exec_lo, s6
	s_mov_b32 s4, 0
.LBB3_9:                                ;   in Loop: Header=BB3_3 Depth=1
	s_or_saveexec_b32 s0, s1
	v_dual_mov_b32 v9, s4 :: v_dual_mov_b32 v26, v8
	v_mov_b32_e32 v25, v7
	s_xor_b32 exec_lo, exec_lo, s0
	s_cbranch_execz .LBB3_11
; %bb.10:                               ;   in Loop: Header=BB3_3 Depth=1
	s_waitcnt vmcnt(0)
	flat_load_b64 v[2:3], v[7:8]
	v_add_co_u32 v25, vcc_lo, v7, 8
	v_add_co_ci_u32_e32 v26, vcc_lo, 0, v8, vcc_lo
	s_waitcnt vmcnt(0) lgkmcnt(0)
	v_and_b32_e32 v9, 0xff, v3
	v_and_b32_e32 v13, 0xff00, v3
	;; [unrolled: 1-line block ×4, first 2 shown]
	v_or3_b32 v2, v2, 0, 0
	s_delay_alu instid0(VALU_DEP_4) | instskip(SKIP_1) | instid1(VALU_DEP_2)
	v_or_b32_e32 v13, v9, v13
	v_add_nc_u32_e32 v9, -8, v29
	v_or3_b32 v3, v13, v14, v3
.LBB3_11:                               ;   in Loop: Header=BB3_3 Depth=1
	s_or_b32 exec_lo, exec_lo, s0
                                        ; implicit-def: $vgpr13_vgpr14
                                        ; implicit-def: $sgpr1
	s_delay_alu instid0(SALU_CYCLE_1) | instskip(NEXT) | instid1(VALU_DEP_2)
	s_mov_b32 s0, exec_lo
	v_cmpx_gt_u32_e32 8, v9
	s_xor_b32 s6, exec_lo, s0
	s_cbranch_execz .LBB3_17
; %bb.12:                               ;   in Loop: Header=BB3_3 Depth=1
	v_mov_b32_e32 v13, 0
	v_mov_b32_e32 v14, 0
	s_mov_b32 s7, exec_lo
	v_cmpx_ne_u32_e32 0, v9
	s_cbranch_execz .LBB3_16
; %bb.13:                               ;   in Loop: Header=BB3_3 Depth=1
	v_mov_b32_e32 v13, 0
	v_mov_b32_e32 v14, 0
	s_mov_b64 s[0:1], 0
	s_mov_b32 s13, 0
	s_mov_b64 s[4:5], 0
	.p2align	6
.LBB3_14:                               ;   Parent Loop BB3_3 Depth=1
                                        ; =>  This Inner Loop Header: Depth=2
	s_delay_alu instid0(SALU_CYCLE_1)
	v_add_co_u32 v15, vcc_lo, v25, s4
	v_add_co_ci_u32_e32 v16, vcc_lo, s5, v26, vcc_lo
	s_add_u32 s4, s4, 1
	s_addc_u32 s5, s5, 0
	v_cmp_eq_u32_e32 vcc_lo, s4, v9
	flat_load_u8 v15, v[15:16]
	s_waitcnt vmcnt(0) lgkmcnt(0)
	v_dual_mov_b32 v16, s11 :: v_dual_and_b32 v15, 0xffff, v15
	s_delay_alu instid0(VALU_DEP_1) | instskip(SKIP_3) | instid1(VALU_DEP_1)
	v_lshlrev_b64 v[15:16], s0, v[15:16]
	s_add_u32 s0, s0, 8
	s_addc_u32 s1, s1, 0
	s_or_b32 s13, vcc_lo, s13
	v_or_b32_e32 v14, v16, v14
	s_delay_alu instid0(VALU_DEP_2)
	v_or_b32_e32 v13, v15, v13
	s_and_not1_b32 exec_lo, exec_lo, s13
	s_cbranch_execnz .LBB3_14
; %bb.15:                               ;   in Loop: Header=BB3_3 Depth=1
	s_or_b32 exec_lo, exec_lo, s13
.LBB3_16:                               ;   in Loop: Header=BB3_3 Depth=1
	s_delay_alu instid0(SALU_CYCLE_1)
	s_or_b32 exec_lo, exec_lo, s7
	s_mov_b32 s1, 0
                                        ; implicit-def: $vgpr9
.LBB3_17:                               ;   in Loop: Header=BB3_3 Depth=1
	s_or_saveexec_b32 s0, s6
	v_mov_b32_e32 v17, s1
	s_xor_b32 exec_lo, exec_lo, s0
	s_cbranch_execz .LBB3_19
; %bb.18:                               ;   in Loop: Header=BB3_3 Depth=1
	flat_load_b64 v[13:14], v[25:26]
	v_add_co_u32 v25, vcc_lo, v25, 8
	v_add_nc_u32_e32 v17, -8, v9
	v_add_co_ci_u32_e32 v26, vcc_lo, 0, v26, vcc_lo
	s_waitcnt vmcnt(0) lgkmcnt(0)
	v_and_b32_e32 v15, 0xff, v14
	v_and_b32_e32 v16, 0xff00, v14
	;; [unrolled: 1-line block ×4, first 2 shown]
	v_or3_b32 v13, v13, 0, 0
	s_delay_alu instid0(VALU_DEP_4) | instskip(NEXT) | instid1(VALU_DEP_1)
	v_or_b32_e32 v15, v15, v16
	v_or3_b32 v14, v15, v18, v14
.LBB3_19:                               ;   in Loop: Header=BB3_3 Depth=1
	s_or_b32 exec_lo, exec_lo, s0
                                        ; implicit-def: $sgpr1
	s_delay_alu instid0(SALU_CYCLE_1)
	s_mov_b32 s0, exec_lo
	v_cmpx_gt_u32_e32 8, v17
	s_xor_b32 s6, exec_lo, s0
	s_cbranch_execz .LBB3_25
; %bb.20:                               ;   in Loop: Header=BB3_3 Depth=1
	v_mov_b32_e32 v15, 0
	v_mov_b32_e32 v16, 0
	s_mov_b32 s7, exec_lo
	v_cmpx_ne_u32_e32 0, v17
	s_cbranch_execz .LBB3_24
; %bb.21:                               ;   in Loop: Header=BB3_3 Depth=1
	v_mov_b32_e32 v15, 0
	v_mov_b32_e32 v16, 0
	s_mov_b64 s[0:1], 0
	s_mov_b32 s13, 0
	s_mov_b64 s[4:5], 0
	.p2align	6
.LBB3_22:                               ;   Parent Loop BB3_3 Depth=1
                                        ; =>  This Inner Loop Header: Depth=2
	s_delay_alu instid0(SALU_CYCLE_1)
	v_add_co_u32 v18, vcc_lo, v25, s4
	v_add_co_ci_u32_e32 v19, vcc_lo, s5, v26, vcc_lo
	s_add_u32 s4, s4, 1
	s_addc_u32 s5, s5, 0
	v_cmp_eq_u32_e32 vcc_lo, s4, v17
	flat_load_u8 v9, v[18:19]
	s_waitcnt vmcnt(0) lgkmcnt(0)
	v_dual_mov_b32 v19, s11 :: v_dual_and_b32 v18, 0xffff, v9
	s_delay_alu instid0(VALU_DEP_1) | instskip(SKIP_3) | instid1(VALU_DEP_1)
	v_lshlrev_b64 v[18:19], s0, v[18:19]
	s_add_u32 s0, s0, 8
	s_addc_u32 s1, s1, 0
	s_or_b32 s13, vcc_lo, s13
	v_or_b32_e32 v16, v19, v16
	s_delay_alu instid0(VALU_DEP_2)
	v_or_b32_e32 v15, v18, v15
	s_and_not1_b32 exec_lo, exec_lo, s13
	s_cbranch_execnz .LBB3_22
; %bb.23:                               ;   in Loop: Header=BB3_3 Depth=1
	s_or_b32 exec_lo, exec_lo, s13
.LBB3_24:                               ;   in Loop: Header=BB3_3 Depth=1
	s_delay_alu instid0(SALU_CYCLE_1)
	s_or_b32 exec_lo, exec_lo, s7
	s_mov_b32 s1, 0
                                        ; implicit-def: $vgpr17
.LBB3_25:                               ;   in Loop: Header=BB3_3 Depth=1
	s_or_saveexec_b32 s0, s6
	v_mov_b32_e32 v9, s1
	s_xor_b32 exec_lo, exec_lo, s0
	s_cbranch_execz .LBB3_27
; %bb.26:                               ;   in Loop: Header=BB3_3 Depth=1
	flat_load_b64 v[15:16], v[25:26]
	v_add_co_u32 v25, vcc_lo, v25, 8
	v_add_co_ci_u32_e32 v26, vcc_lo, 0, v26, vcc_lo
	s_waitcnt vmcnt(0) lgkmcnt(0)
	v_and_b32_e32 v9, 0xff, v16
	v_and_b32_e32 v18, 0xff00, v16
	;; [unrolled: 1-line block ×4, first 2 shown]
	v_or3_b32 v15, v15, 0, 0
	s_delay_alu instid0(VALU_DEP_4) | instskip(SKIP_1) | instid1(VALU_DEP_2)
	v_or_b32_e32 v18, v9, v18
	v_add_nc_u32_e32 v9, -8, v17
	v_or3_b32 v16, v18, v19, v16
.LBB3_27:                               ;   in Loop: Header=BB3_3 Depth=1
	s_or_b32 exec_lo, exec_lo, s0
                                        ; implicit-def: $vgpr17_vgpr18
                                        ; implicit-def: $sgpr1
	s_delay_alu instid0(SALU_CYCLE_1) | instskip(NEXT) | instid1(VALU_DEP_1)
	s_mov_b32 s0, exec_lo
	v_cmpx_gt_u32_e32 8, v9
	s_xor_b32 s6, exec_lo, s0
	s_cbranch_execz .LBB3_33
; %bb.28:                               ;   in Loop: Header=BB3_3 Depth=1
	v_mov_b32_e32 v17, 0
	v_mov_b32_e32 v18, 0
	s_mov_b32 s7, exec_lo
	v_cmpx_ne_u32_e32 0, v9
	s_cbranch_execz .LBB3_32
; %bb.29:                               ;   in Loop: Header=BB3_3 Depth=1
	v_mov_b32_e32 v17, 0
	v_mov_b32_e32 v18, 0
	s_mov_b64 s[0:1], 0
	s_mov_b32 s13, 0
	s_mov_b64 s[4:5], 0
	.p2align	6
.LBB3_30:                               ;   Parent Loop BB3_3 Depth=1
                                        ; =>  This Inner Loop Header: Depth=2
	s_delay_alu instid0(SALU_CYCLE_1)
	v_add_co_u32 v19, vcc_lo, v25, s4
	v_add_co_ci_u32_e32 v20, vcc_lo, s5, v26, vcc_lo
	s_add_u32 s4, s4, 1
	s_addc_u32 s5, s5, 0
	v_cmp_eq_u32_e32 vcc_lo, s4, v9
	flat_load_u8 v19, v[19:20]
	s_waitcnt vmcnt(0) lgkmcnt(0)
	v_dual_mov_b32 v20, s11 :: v_dual_and_b32 v19, 0xffff, v19
	s_delay_alu instid0(VALU_DEP_1) | instskip(SKIP_3) | instid1(VALU_DEP_1)
	v_lshlrev_b64 v[19:20], s0, v[19:20]
	s_add_u32 s0, s0, 8
	s_addc_u32 s1, s1, 0
	s_or_b32 s13, vcc_lo, s13
	v_or_b32_e32 v18, v20, v18
	s_delay_alu instid0(VALU_DEP_2)
	v_or_b32_e32 v17, v19, v17
	s_and_not1_b32 exec_lo, exec_lo, s13
	s_cbranch_execnz .LBB3_30
; %bb.31:                               ;   in Loop: Header=BB3_3 Depth=1
	s_or_b32 exec_lo, exec_lo, s13
.LBB3_32:                               ;   in Loop: Header=BB3_3 Depth=1
	s_delay_alu instid0(SALU_CYCLE_1)
	s_or_b32 exec_lo, exec_lo, s7
	s_mov_b32 s1, 0
                                        ; implicit-def: $vgpr9
.LBB3_33:                               ;   in Loop: Header=BB3_3 Depth=1
	s_or_saveexec_b32 s0, s6
	v_mov_b32_e32 v21, s1
	s_xor_b32 exec_lo, exec_lo, s0
	s_cbranch_execz .LBB3_35
; %bb.34:                               ;   in Loop: Header=BB3_3 Depth=1
	flat_load_b64 v[17:18], v[25:26]
	v_add_co_u32 v25, vcc_lo, v25, 8
	v_add_nc_u32_e32 v21, -8, v9
	v_add_co_ci_u32_e32 v26, vcc_lo, 0, v26, vcc_lo
	s_waitcnt vmcnt(0) lgkmcnt(0)
	v_and_b32_e32 v19, 0xff, v18
	v_and_b32_e32 v20, 0xff00, v18
	;; [unrolled: 1-line block ×4, first 2 shown]
	v_or3_b32 v17, v17, 0, 0
	s_delay_alu instid0(VALU_DEP_4) | instskip(NEXT) | instid1(VALU_DEP_1)
	v_or_b32_e32 v19, v19, v20
	v_or3_b32 v18, v19, v22, v18
.LBB3_35:                               ;   in Loop: Header=BB3_3 Depth=1
	s_or_b32 exec_lo, exec_lo, s0
                                        ; implicit-def: $sgpr1
	s_delay_alu instid0(SALU_CYCLE_1)
	s_mov_b32 s0, exec_lo
	v_cmpx_gt_u32_e32 8, v21
	s_xor_b32 s6, exec_lo, s0
	s_cbranch_execz .LBB3_41
; %bb.36:                               ;   in Loop: Header=BB3_3 Depth=1
	v_mov_b32_e32 v19, 0
	v_mov_b32_e32 v20, 0
	s_mov_b32 s7, exec_lo
	v_cmpx_ne_u32_e32 0, v21
	s_cbranch_execz .LBB3_40
; %bb.37:                               ;   in Loop: Header=BB3_3 Depth=1
	v_mov_b32_e32 v19, 0
	v_mov_b32_e32 v20, 0
	s_mov_b64 s[0:1], 0
	s_mov_b32 s13, 0
	s_mov_b64 s[4:5], 0
	.p2align	6
.LBB3_38:                               ;   Parent Loop BB3_3 Depth=1
                                        ; =>  This Inner Loop Header: Depth=2
	s_delay_alu instid0(SALU_CYCLE_1)
	v_add_co_u32 v22, vcc_lo, v25, s4
	v_add_co_ci_u32_e32 v23, vcc_lo, s5, v26, vcc_lo
	s_add_u32 s4, s4, 1
	s_addc_u32 s5, s5, 0
	v_cmp_eq_u32_e32 vcc_lo, s4, v21
	flat_load_u8 v9, v[22:23]
	s_waitcnt vmcnt(0) lgkmcnt(0)
	v_dual_mov_b32 v23, s11 :: v_dual_and_b32 v22, 0xffff, v9
	s_delay_alu instid0(VALU_DEP_1) | instskip(SKIP_3) | instid1(VALU_DEP_1)
	v_lshlrev_b64 v[22:23], s0, v[22:23]
	s_add_u32 s0, s0, 8
	s_addc_u32 s1, s1, 0
	s_or_b32 s13, vcc_lo, s13
	v_or_b32_e32 v20, v23, v20
	s_delay_alu instid0(VALU_DEP_2)
	v_or_b32_e32 v19, v22, v19
	s_and_not1_b32 exec_lo, exec_lo, s13
	s_cbranch_execnz .LBB3_38
; %bb.39:                               ;   in Loop: Header=BB3_3 Depth=1
	s_or_b32 exec_lo, exec_lo, s13
.LBB3_40:                               ;   in Loop: Header=BB3_3 Depth=1
	s_delay_alu instid0(SALU_CYCLE_1)
	s_or_b32 exec_lo, exec_lo, s7
	s_mov_b32 s1, 0
                                        ; implicit-def: $vgpr21
.LBB3_41:                               ;   in Loop: Header=BB3_3 Depth=1
	s_or_saveexec_b32 s0, s6
	v_mov_b32_e32 v9, s1
	s_xor_b32 exec_lo, exec_lo, s0
	s_cbranch_execz .LBB3_43
; %bb.42:                               ;   in Loop: Header=BB3_3 Depth=1
	flat_load_b64 v[19:20], v[25:26]
	v_add_co_u32 v25, vcc_lo, v25, 8
	v_add_co_ci_u32_e32 v26, vcc_lo, 0, v26, vcc_lo
	s_waitcnt vmcnt(0) lgkmcnt(0)
	v_and_b32_e32 v9, 0xff, v20
	v_and_b32_e32 v22, 0xff00, v20
	v_and_b32_e32 v23, 0xff0000, v20
	v_and_b32_e32 v20, 0xff000000, v20
	v_or3_b32 v19, v19, 0, 0
	s_delay_alu instid0(VALU_DEP_4) | instskip(SKIP_1) | instid1(VALU_DEP_2)
	v_or_b32_e32 v22, v9, v22
	v_add_nc_u32_e32 v9, -8, v21
	v_or3_b32 v20, v22, v23, v20
.LBB3_43:                               ;   in Loop: Header=BB3_3 Depth=1
	s_or_b32 exec_lo, exec_lo, s0
                                        ; implicit-def: $vgpr21_vgpr22
                                        ; implicit-def: $sgpr1
	s_delay_alu instid0(SALU_CYCLE_1) | instskip(NEXT) | instid1(VALU_DEP_1)
	s_mov_b32 s0, exec_lo
	v_cmpx_gt_u32_e32 8, v9
	s_xor_b32 s6, exec_lo, s0
	s_cbranch_execz .LBB3_49
; %bb.44:                               ;   in Loop: Header=BB3_3 Depth=1
	v_mov_b32_e32 v21, 0
	v_mov_b32_e32 v22, 0
	s_mov_b32 s7, exec_lo
	v_cmpx_ne_u32_e32 0, v9
	s_cbranch_execz .LBB3_48
; %bb.45:                               ;   in Loop: Header=BB3_3 Depth=1
	v_mov_b32_e32 v21, 0
	v_mov_b32_e32 v22, 0
	s_mov_b64 s[0:1], 0
	s_mov_b32 s13, 0
	s_mov_b64 s[4:5], 0
	.p2align	6
.LBB3_46:                               ;   Parent Loop BB3_3 Depth=1
                                        ; =>  This Inner Loop Header: Depth=2
	s_delay_alu instid0(SALU_CYCLE_1)
	v_add_co_u32 v23, vcc_lo, v25, s4
	v_add_co_ci_u32_e32 v24, vcc_lo, s5, v26, vcc_lo
	s_add_u32 s4, s4, 1
	s_addc_u32 s5, s5, 0
	v_cmp_eq_u32_e32 vcc_lo, s4, v9
	flat_load_u8 v23, v[23:24]
	s_waitcnt vmcnt(0) lgkmcnt(0)
	v_dual_mov_b32 v24, s11 :: v_dual_and_b32 v23, 0xffff, v23
	s_delay_alu instid0(VALU_DEP_1) | instskip(SKIP_3) | instid1(VALU_DEP_1)
	v_lshlrev_b64 v[23:24], s0, v[23:24]
	s_add_u32 s0, s0, 8
	s_addc_u32 s1, s1, 0
	s_or_b32 s13, vcc_lo, s13
	v_or_b32_e32 v22, v24, v22
	s_delay_alu instid0(VALU_DEP_2)
	v_or_b32_e32 v21, v23, v21
	s_and_not1_b32 exec_lo, exec_lo, s13
	s_cbranch_execnz .LBB3_46
; %bb.47:                               ;   in Loop: Header=BB3_3 Depth=1
	s_or_b32 exec_lo, exec_lo, s13
.LBB3_48:                               ;   in Loop: Header=BB3_3 Depth=1
	s_delay_alu instid0(SALU_CYCLE_1)
	s_or_b32 exec_lo, exec_lo, s7
	s_mov_b32 s1, 0
                                        ; implicit-def: $vgpr9
.LBB3_49:                               ;   in Loop: Header=BB3_3 Depth=1
	s_or_saveexec_b32 s0, s6
	v_mov_b32_e32 v27, s1
	s_xor_b32 exec_lo, exec_lo, s0
	s_cbranch_execz .LBB3_51
; %bb.50:                               ;   in Loop: Header=BB3_3 Depth=1
	flat_load_b64 v[21:22], v[25:26]
	v_add_co_u32 v25, vcc_lo, v25, 8
	v_add_nc_u32_e32 v27, -8, v9
	v_add_co_ci_u32_e32 v26, vcc_lo, 0, v26, vcc_lo
	s_waitcnt vmcnt(0) lgkmcnt(0)
	v_and_b32_e32 v23, 0xff, v22
	v_and_b32_e32 v24, 0xff00, v22
	;; [unrolled: 1-line block ×4, first 2 shown]
	v_or3_b32 v21, v21, 0, 0
	s_delay_alu instid0(VALU_DEP_4) | instskip(NEXT) | instid1(VALU_DEP_1)
	v_or_b32_e32 v23, v23, v24
	v_or3_b32 v22, v23, v28, v22
.LBB3_51:                               ;   in Loop: Header=BB3_3 Depth=1
	s_or_b32 exec_lo, exec_lo, s0
	s_delay_alu instid0(SALU_CYCLE_1)
	s_mov_b32 s0, exec_lo
	v_cmpx_gt_u32_e32 8, v27
	s_xor_b32 s4, exec_lo, s0
	s_cbranch_execz .LBB3_57
; %bb.52:                               ;   in Loop: Header=BB3_3 Depth=1
	v_mov_b32_e32 v23, 0
	v_mov_b32_e32 v24, 0
	s_mov_b32 s5, exec_lo
	v_cmpx_ne_u32_e32 0, v27
	s_cbranch_execz .LBB3_56
; %bb.53:                               ;   in Loop: Header=BB3_3 Depth=1
	v_mov_b32_e32 v23, 0
	v_mov_b32_e32 v24, 0
	s_mov_b64 s[0:1], 0
	s_mov_b32 s6, 0
	.p2align	6
.LBB3_54:                               ;   Parent Loop BB3_3 Depth=1
                                        ; =>  This Inner Loop Header: Depth=2
	flat_load_u8 v9, v[25:26]
	v_dual_mov_b32 v32, s11 :: v_dual_add_nc_u32 v27, -1, v27
	v_add_co_u32 v25, vcc_lo, v25, 1
	v_add_co_ci_u32_e32 v26, vcc_lo, 0, v26, vcc_lo
	s_delay_alu instid0(VALU_DEP_3) | instskip(SKIP_2) | instid1(VALU_DEP_1)
	v_cmp_eq_u32_e32 vcc_lo, 0, v27
	s_waitcnt vmcnt(0) lgkmcnt(0)
	v_and_b32_e32 v31, 0xffff, v9
	v_lshlrev_b64 v[31:32], s0, v[31:32]
	s_add_u32 s0, s0, 8
	s_addc_u32 s1, s1, 0
	s_or_b32 s6, vcc_lo, s6
	s_delay_alu instid0(VALU_DEP_1) | instskip(NEXT) | instid1(VALU_DEP_2)
	v_or_b32_e32 v24, v32, v24
	v_or_b32_e32 v23, v31, v23
	s_and_not1_b32 exec_lo, exec_lo, s6
	s_cbranch_execnz .LBB3_54
; %bb.55:                               ;   in Loop: Header=BB3_3 Depth=1
	s_or_b32 exec_lo, exec_lo, s6
.LBB3_56:                               ;   in Loop: Header=BB3_3 Depth=1
	s_delay_alu instid0(SALU_CYCLE_1)
	s_or_b32 exec_lo, exec_lo, s5
                                        ; implicit-def: $vgpr25_vgpr26
.LBB3_57:                               ;   in Loop: Header=BB3_3 Depth=1
	s_and_not1_saveexec_b32 s0, s4
	s_cbranch_execz .LBB3_59
; %bb.58:                               ;   in Loop: Header=BB3_3 Depth=1
	flat_load_b64 v[23:24], v[25:26]
	s_waitcnt vmcnt(0) lgkmcnt(0)
	v_and_b32_e32 v9, 0xff, v24
	v_and_b32_e32 v25, 0xff00, v24
	;; [unrolled: 1-line block ×4, first 2 shown]
	v_or3_b32 v23, v23, 0, 0
	s_delay_alu instid0(VALU_DEP_4) | instskip(NEXT) | instid1(VALU_DEP_1)
	v_or_b32_e32 v9, v9, v25
	v_or3_b32 v24, v9, v26, v24
.LBB3_59:                               ;   in Loop: Header=BB3_3 Depth=1
	s_or_b32 exec_lo, exec_lo, s0
	v_readfirstlane_b32 s0, v33
	v_mov_b32_e32 v31, 0
	v_mov_b32_e32 v32, 0
	s_delay_alu instid0(VALU_DEP_3) | instskip(NEXT) | instid1(VALU_DEP_1)
	v_cmp_eq_u32_e64 s0, s0, v33
	s_and_saveexec_b32 s1, s0
	s_cbranch_execz .LBB3_65
; %bb.60:                               ;   in Loop: Header=BB3_3 Depth=1
	s_waitcnt lgkmcnt(0)
	global_load_b64 v[27:28], v10, s[2:3] offset:24 glc
	s_waitcnt vmcnt(0)
	buffer_gl1_inv
	buffer_gl0_inv
	s_clause 0x1
	global_load_b64 v[25:26], v10, s[2:3] offset:40
	global_load_b64 v[31:32], v10, s[2:3]
	s_mov_b32 s4, exec_lo
	s_waitcnt vmcnt(1)
	v_and_b32_e32 v9, v26, v28
	v_and_b32_e32 v25, v25, v27
	s_delay_alu instid0(VALU_DEP_2) | instskip(NEXT) | instid1(VALU_DEP_2)
	v_mul_lo_u32 v9, v9, 24
	v_mul_hi_u32 v26, v25, 24
	v_mul_lo_u32 v25, v25, 24
	s_delay_alu instid0(VALU_DEP_2) | instskip(SKIP_1) | instid1(VALU_DEP_2)
	v_add_nc_u32_e32 v9, v26, v9
	s_waitcnt vmcnt(0)
	v_add_co_u32 v25, vcc_lo, v31, v25
	s_delay_alu instid0(VALU_DEP_2)
	v_add_co_ci_u32_e32 v26, vcc_lo, v32, v9, vcc_lo
	global_load_b64 v[25:26], v[25:26], off glc
	s_waitcnt vmcnt(0)
	global_atomic_cmpswap_b64 v[31:32], v10, v[25:28], s[2:3] offset:24 glc
	s_waitcnt vmcnt(0)
	buffer_gl1_inv
	buffer_gl0_inv
	v_cmpx_ne_u64_e64 v[31:32], v[27:28]
	s_cbranch_execz .LBB3_64
; %bb.61:                               ;   in Loop: Header=BB3_3 Depth=1
	s_mov_b32 s5, 0
	.p2align	6
.LBB3_62:                               ;   Parent Loop BB3_3 Depth=1
                                        ; =>  This Inner Loop Header: Depth=2
	s_sleep 1
	s_clause 0x1
	global_load_b64 v[25:26], v10, s[2:3] offset:40
	global_load_b64 v[34:35], v10, s[2:3]
	v_dual_mov_b32 v27, v31 :: v_dual_mov_b32 v28, v32
	s_waitcnt vmcnt(1)
	s_delay_alu instid0(VALU_DEP_1) | instskip(SKIP_1) | instid1(VALU_DEP_1)
	v_and_b32_e32 v9, v25, v27
	s_waitcnt vmcnt(0)
	v_mad_u64_u32 v[31:32], null, v9, 24, v[34:35]
	s_delay_alu instid0(VALU_DEP_1) | instskip(NEXT) | instid1(VALU_DEP_1)
	v_dual_mov_b32 v9, v32 :: v_dual_and_b32 v34, v26, v28
	v_mad_u64_u32 v[25:26], null, v34, 24, v[9:10]
	s_delay_alu instid0(VALU_DEP_1)
	v_mov_b32_e32 v32, v25
	global_load_b64 v[25:26], v[31:32], off glc
	s_waitcnt vmcnt(0)
	global_atomic_cmpswap_b64 v[31:32], v10, v[25:28], s[2:3] offset:24 glc
	s_waitcnt vmcnt(0)
	buffer_gl1_inv
	buffer_gl0_inv
	v_cmp_eq_u64_e32 vcc_lo, v[31:32], v[27:28]
	s_or_b32 s5, vcc_lo, s5
	s_delay_alu instid0(SALU_CYCLE_1)
	s_and_not1_b32 exec_lo, exec_lo, s5
	s_cbranch_execnz .LBB3_62
; %bb.63:                               ;   in Loop: Header=BB3_3 Depth=1
	s_or_b32 exec_lo, exec_lo, s5
.LBB3_64:                               ;   in Loop: Header=BB3_3 Depth=1
	s_delay_alu instid0(SALU_CYCLE_1)
	s_or_b32 exec_lo, exec_lo, s4
.LBB3_65:                               ;   in Loop: Header=BB3_3 Depth=1
	s_delay_alu instid0(SALU_CYCLE_1)
	s_or_b32 exec_lo, exec_lo, s1
	s_waitcnt lgkmcnt(0)
	s_clause 0x1
	global_load_b64 v[34:35], v10, s[2:3] offset:40
	global_load_b128 v[25:28], v10, s[2:3]
	v_readfirstlane_b32 s4, v31
	v_readfirstlane_b32 s5, v32
	s_mov_b32 s1, exec_lo
	s_waitcnt vmcnt(1)
	v_readfirstlane_b32 s6, v34
	v_readfirstlane_b32 s7, v35
	s_delay_alu instid0(VALU_DEP_1) | instskip(NEXT) | instid1(SALU_CYCLE_1)
	s_and_b64 s[6:7], s[4:5], s[6:7]
	s_mul_i32 s13, s7, 24
	s_mul_hi_u32 s14, s6, 24
	s_mul_i32 s15, s6, 24
	s_add_i32 s14, s14, s13
	s_waitcnt vmcnt(0)
	v_add_co_u32 v31, vcc_lo, v25, s15
	v_add_co_ci_u32_e32 v32, vcc_lo, s14, v26, vcc_lo
	s_and_saveexec_b32 s13, s0
	s_cbranch_execz .LBB3_67
; %bb.66:                               ;   in Loop: Header=BB3_3 Depth=1
	v_mov_b32_e32 v9, s1
	global_store_b128 v[31:32], v[9:12], off offset:8
.LBB3_67:                               ;   in Loop: Header=BB3_3 Depth=1
	s_or_b32 exec_lo, exec_lo, s13
	v_cmp_lt_u64_e32 vcc_lo, 56, v[4:5]
	v_or_b32_e32 v9, 0, v1
	v_or_b32_e32 v34, v0, v6
	v_lshl_add_u32 v35, v29, 2, 28
	s_lshl_b64 s[6:7], s[6:7], 12
	s_delay_alu instid0(SALU_CYCLE_1) | instskip(NEXT) | instid1(VALU_DEP_1)
	v_add_co_u32 v27, s1, v27, s6
	v_add_co_ci_u32_e64 v28, s1, s7, v28, s1
	v_dual_cndmask_b32 v1, v9, v1 :: v_dual_cndmask_b32 v0, v34, v0
	v_and_b32_e32 v9, 0x1e0, v35
	v_lshlrev_b32_e32 v34, 6, v33
	v_readfirstlane_b32 s6, v27
	v_readfirstlane_b32 s7, v28
	s_delay_alu instid0(VALU_DEP_4)
	v_and_or_b32 v0, 0xffffff1f, v0, v9
	s_clause 0x3
	global_store_b128 v34, v[0:3], s[6:7]
	global_store_b128 v34, v[13:16], s[6:7] offset:16
	global_store_b128 v34, v[17:20], s[6:7] offset:32
	;; [unrolled: 1-line block ×3, first 2 shown]
	s_and_saveexec_b32 s1, s0
	s_cbranch_execz .LBB3_75
; %bb.68:                               ;   in Loop: Header=BB3_3 Depth=1
	s_clause 0x1
	global_load_b64 v[17:18], v10, s[2:3] offset:32 glc
	global_load_b64 v[0:1], v10, s[2:3] offset:40
	v_dual_mov_b32 v15, s4 :: v_dual_mov_b32 v16, s5
	s_waitcnt vmcnt(0)
	v_readfirstlane_b32 s6, v0
	v_readfirstlane_b32 s7, v1
	s_delay_alu instid0(VALU_DEP_1) | instskip(NEXT) | instid1(SALU_CYCLE_1)
	s_and_b64 s[6:7], s[6:7], s[4:5]
	s_mul_i32 s7, s7, 24
	s_mul_hi_u32 s13, s6, 24
	s_mul_i32 s6, s6, 24
	s_add_i32 s13, s13, s7
	v_add_co_u32 v13, vcc_lo, v25, s6
	v_add_co_ci_u32_e32 v14, vcc_lo, s13, v26, vcc_lo
	s_mov_b32 s6, exec_lo
	global_store_b64 v[13:14], v[17:18], off
	s_waitcnt_vscnt null, 0x0
	global_atomic_cmpswap_b64 v[2:3], v10, v[15:18], s[2:3] offset:32 glc
	s_waitcnt vmcnt(0)
	v_cmpx_ne_u64_e64 v[2:3], v[17:18]
	s_cbranch_execz .LBB3_71
; %bb.69:                               ;   in Loop: Header=BB3_3 Depth=1
	s_mov_b32 s7, 0
.LBB3_70:                               ;   Parent Loop BB3_3 Depth=1
                                        ; =>  This Inner Loop Header: Depth=2
	v_dual_mov_b32 v0, s4 :: v_dual_mov_b32 v1, s5
	s_sleep 1
	global_store_b64 v[13:14], v[2:3], off
	s_waitcnt_vscnt null, 0x0
	global_atomic_cmpswap_b64 v[0:1], v10, v[0:3], s[2:3] offset:32 glc
	s_waitcnt vmcnt(0)
	v_cmp_eq_u64_e32 vcc_lo, v[0:1], v[2:3]
	v_dual_mov_b32 v3, v1 :: v_dual_mov_b32 v2, v0
	s_or_b32 s7, vcc_lo, s7
	s_delay_alu instid0(SALU_CYCLE_1)
	s_and_not1_b32 exec_lo, exec_lo, s7
	s_cbranch_execnz .LBB3_70
.LBB3_71:                               ;   in Loop: Header=BB3_3 Depth=1
	s_or_b32 exec_lo, exec_lo, s6
	global_load_b64 v[0:1], v10, s[2:3] offset:16
	s_mov_b32 s7, exec_lo
	s_mov_b32 s6, exec_lo
	v_mbcnt_lo_u32_b32 v2, s7, 0
	s_delay_alu instid0(VALU_DEP_1)
	v_cmpx_eq_u32_e32 0, v2
	s_cbranch_execz .LBB3_73
; %bb.72:                               ;   in Loop: Header=BB3_3 Depth=1
	s_bcnt1_i32_b32 s7, s7
	s_delay_alu instid0(SALU_CYCLE_1)
	v_mov_b32_e32 v9, s7
	s_waitcnt vmcnt(0)
	global_atomic_add_u64 v[0:1], v[9:10], off offset:8
.LBB3_73:                               ;   in Loop: Header=BB3_3 Depth=1
	s_or_b32 exec_lo, exec_lo, s6
	s_waitcnt vmcnt(0)
	global_load_b64 v[2:3], v[0:1], off offset:16
	s_waitcnt vmcnt(0)
	v_cmp_eq_u64_e32 vcc_lo, 0, v[2:3]
	s_cbranch_vccnz .LBB3_75
; %bb.74:                               ;   in Loop: Header=BB3_3 Depth=1
	global_load_b32 v9, v[0:1], off offset:24
	s_waitcnt vmcnt(0)
	v_and_b32_e32 v0, 0xffffff, v9
	s_waitcnt_vscnt null, 0x0
	global_store_b64 v[2:3], v[9:10], off
	v_readfirstlane_b32 m0, v0
	s_sendmsg sendmsg(MSG_INTERRUPT)
.LBB3_75:                               ;   in Loop: Header=BB3_3 Depth=1
	s_or_b32 exec_lo, exec_lo, s1
	v_add_co_u32 v0, vcc_lo, v27, v34
	v_add_co_ci_u32_e32 v1, vcc_lo, 0, v28, vcc_lo
	s_branch .LBB3_79
	.p2align	6
.LBB3_76:                               ;   in Loop: Header=BB3_79 Depth=2
	s_or_b32 exec_lo, exec_lo, s1
	s_delay_alu instid0(VALU_DEP_1) | instskip(NEXT) | instid1(VALU_DEP_1)
	v_readfirstlane_b32 s1, v2
	s_cmp_eq_u32 s1, 0
	s_cbranch_scc1 .LBB3_78
; %bb.77:                               ;   in Loop: Header=BB3_79 Depth=2
	s_sleep 1
	s_cbranch_execnz .LBB3_79
	s_branch .LBB3_81
	.p2align	6
.LBB3_78:                               ;   in Loop: Header=BB3_3 Depth=1
	s_branch .LBB3_81
.LBB3_79:                               ;   Parent Loop BB3_3 Depth=1
                                        ; =>  This Inner Loop Header: Depth=2
	v_mov_b32_e32 v2, 1
	s_and_saveexec_b32 s1, s0
	s_cbranch_execz .LBB3_76
; %bb.80:                               ;   in Loop: Header=BB3_79 Depth=2
	global_load_b32 v2, v[31:32], off offset:20 glc
	s_waitcnt vmcnt(0)
	buffer_gl1_inv
	buffer_gl0_inv
	v_and_b32_e32 v2, 1, v2
	s_branch .LBB3_76
.LBB3_81:                               ;   in Loop: Header=BB3_3 Depth=1
	global_load_b128 v[0:3], v[0:1], off
	s_and_saveexec_b32 s1, s0
	s_cbranch_execz .LBB3_2
; %bb.82:                               ;   in Loop: Header=BB3_3 Depth=1
	s_clause 0x2
	global_load_b64 v[2:3], v10, s[2:3] offset:40
	global_load_b64 v[17:18], v10, s[2:3] offset:24 glc
	global_load_b64 v[15:16], v10, s[2:3]
	s_waitcnt vmcnt(2)
	v_add_co_u32 v9, vcc_lo, v2, 1
	v_add_co_ci_u32_e32 v19, vcc_lo, 0, v3, vcc_lo
	s_delay_alu instid0(VALU_DEP_2) | instskip(NEXT) | instid1(VALU_DEP_2)
	v_add_co_u32 v13, vcc_lo, v9, s4
	v_add_co_ci_u32_e32 v14, vcc_lo, s5, v19, vcc_lo
	s_delay_alu instid0(VALU_DEP_1) | instskip(SKIP_1) | instid1(VALU_DEP_1)
	v_cmp_eq_u64_e32 vcc_lo, 0, v[13:14]
	v_dual_cndmask_b32 v14, v14, v19 :: v_dual_cndmask_b32 v13, v13, v9
	v_and_b32_e32 v3, v14, v3
	s_delay_alu instid0(VALU_DEP_2) | instskip(NEXT) | instid1(VALU_DEP_2)
	v_and_b32_e32 v2, v13, v2
	v_mul_lo_u32 v3, v3, 24
	s_delay_alu instid0(VALU_DEP_2) | instskip(SKIP_1) | instid1(VALU_DEP_2)
	v_mul_hi_u32 v9, v2, 24
	v_mul_lo_u32 v2, v2, 24
	v_add_nc_u32_e32 v3, v9, v3
	s_waitcnt vmcnt(0)
	s_delay_alu instid0(VALU_DEP_2) | instskip(SKIP_1) | instid1(VALU_DEP_3)
	v_add_co_u32 v2, vcc_lo, v15, v2
	v_mov_b32_e32 v15, v17
	v_add_co_ci_u32_e32 v3, vcc_lo, v16, v3, vcc_lo
	v_mov_b32_e32 v16, v18
	global_store_b64 v[2:3], v[17:18], off
	s_waitcnt_vscnt null, 0x0
	global_atomic_cmpswap_b64 v[15:16], v10, v[13:16], s[2:3] offset:24 glc
	s_waitcnt vmcnt(0)
	v_cmp_ne_u64_e32 vcc_lo, v[15:16], v[17:18]
	s_and_b32 exec_lo, exec_lo, vcc_lo
	s_cbranch_execz .LBB3_2
; %bb.83:                               ;   in Loop: Header=BB3_3 Depth=1
	s_mov_b32 s0, 0
.LBB3_84:                               ;   Parent Loop BB3_3 Depth=1
                                        ; =>  This Inner Loop Header: Depth=2
	s_sleep 1
	global_store_b64 v[2:3], v[15:16], off
	s_waitcnt_vscnt null, 0x0
	global_atomic_cmpswap_b64 v[17:18], v10, v[13:16], s[2:3] offset:24 glc
	s_waitcnt vmcnt(0)
	v_cmp_eq_u64_e32 vcc_lo, v[17:18], v[15:16]
	v_dual_mov_b32 v15, v17 :: v_dual_mov_b32 v16, v18
	s_or_b32 s0, vcc_lo, s0
	s_delay_alu instid0(SALU_CYCLE_1)
	s_and_not1_b32 exec_lo, exec_lo, s0
	s_cbranch_execnz .LBB3_84
	s_branch .LBB3_2
.LBB3_85:
	s_or_b32 exec_lo, exec_lo, s12
                                        ; implicit-def: $vgpr0
                                        ; implicit-def: $vgpr33
                                        ; implicit-def: $vgpr1
.LBB3_86:
	s_and_not1_saveexec_b32 s1, s10
	s_cbranch_execz .LBB3_108
; %bb.87:
	s_load_b64 s[2:3], s[8:9], 0x50
	v_readfirstlane_b32 s0, v33
	v_mov_b32_e32 v8, 0
	v_mov_b32_e32 v9, 0
	s_delay_alu instid0(VALU_DEP_3) | instskip(NEXT) | instid1(VALU_DEP_1)
	v_cmp_eq_u32_e64 s0, s0, v33
	s_and_saveexec_b32 s4, s0
	s_cbranch_execz .LBB3_93
; %bb.88:
	s_waitcnt vmcnt(0)
	v_mov_b32_e32 v2, 0
	s_mov_b32 s5, exec_lo
	s_waitcnt lgkmcnt(0)
	global_load_b64 v[5:6], v2, s[2:3] offset:24 glc
	s_waitcnt vmcnt(0)
	buffer_gl1_inv
	buffer_gl0_inv
	s_clause 0x1
	global_load_b64 v[3:4], v2, s[2:3] offset:40
	global_load_b64 v[7:8], v2, s[2:3]
	s_waitcnt vmcnt(1)
	v_and_b32_e32 v3, v3, v5
	v_and_b32_e32 v4, v4, v6
	s_delay_alu instid0(VALU_DEP_2) | instskip(NEXT) | instid1(VALU_DEP_2)
	v_mul_hi_u32 v9, v3, 24
	v_mul_lo_u32 v4, v4, 24
	v_mul_lo_u32 v3, v3, 24
	s_delay_alu instid0(VALU_DEP_2) | instskip(SKIP_1) | instid1(VALU_DEP_2)
	v_add_nc_u32_e32 v4, v9, v4
	s_waitcnt vmcnt(0)
	v_add_co_u32 v3, vcc_lo, v7, v3
	s_delay_alu instid0(VALU_DEP_2)
	v_add_co_ci_u32_e32 v4, vcc_lo, v8, v4, vcc_lo
	global_load_b64 v[3:4], v[3:4], off glc
	s_waitcnt vmcnt(0)
	global_atomic_cmpswap_b64 v[8:9], v2, v[3:6], s[2:3] offset:24 glc
	s_waitcnt vmcnt(0)
	buffer_gl1_inv
	buffer_gl0_inv
	v_cmpx_ne_u64_e64 v[8:9], v[5:6]
	s_cbranch_execz .LBB3_92
; %bb.89:
	s_mov_b32 s6, 0
	.p2align	6
.LBB3_90:                               ; =>This Inner Loop Header: Depth=1
	s_sleep 1
	s_clause 0x1
	global_load_b64 v[3:4], v2, s[2:3] offset:40
	global_load_b64 v[10:11], v2, s[2:3]
	v_dual_mov_b32 v5, v8 :: v_dual_mov_b32 v6, v9
	s_waitcnt vmcnt(1)
	s_delay_alu instid0(VALU_DEP_1) | instskip(NEXT) | instid1(VALU_DEP_2)
	v_and_b32_e32 v3, v3, v5
	v_and_b32_e32 v4, v4, v6
	s_waitcnt vmcnt(0)
	s_delay_alu instid0(VALU_DEP_2) | instskip(NEXT) | instid1(VALU_DEP_1)
	v_mad_u64_u32 v[7:8], null, v3, 24, v[10:11]
	v_mov_b32_e32 v3, v8
	s_delay_alu instid0(VALU_DEP_1)
	v_mad_u64_u32 v[8:9], null, v4, 24, v[3:4]
	global_load_b64 v[3:4], v[7:8], off glc
	s_waitcnt vmcnt(0)
	global_atomic_cmpswap_b64 v[8:9], v2, v[3:6], s[2:3] offset:24 glc
	s_waitcnt vmcnt(0)
	buffer_gl1_inv
	buffer_gl0_inv
	v_cmp_eq_u64_e32 vcc_lo, v[8:9], v[5:6]
	s_or_b32 s6, vcc_lo, s6
	s_delay_alu instid0(SALU_CYCLE_1)
	s_and_not1_b32 exec_lo, exec_lo, s6
	s_cbranch_execnz .LBB3_90
; %bb.91:
	s_or_b32 exec_lo, exec_lo, s6
.LBB3_92:
	s_delay_alu instid0(SALU_CYCLE_1)
	s_or_b32 exec_lo, exec_lo, s5
.LBB3_93:
	s_delay_alu instid0(SALU_CYCLE_1)
	s_or_b32 exec_lo, exec_lo, s4
	s_waitcnt vmcnt(0)
	v_mov_b32_e32 v2, 0
	v_readfirstlane_b32 s4, v8
	v_readfirstlane_b32 s5, v9
	s_mov_b32 s8, exec_lo
	s_waitcnt lgkmcnt(0)
	s_clause 0x1
	global_load_b64 v[10:11], v2, s[2:3] offset:40
	global_load_b128 v[4:7], v2, s[2:3]
	s_waitcnt vmcnt(1)
	v_readfirstlane_b32 s6, v10
	v_readfirstlane_b32 s7, v11
	s_delay_alu instid0(VALU_DEP_1) | instskip(NEXT) | instid1(SALU_CYCLE_1)
	s_and_b64 s[6:7], s[4:5], s[6:7]
	s_mul_i32 s9, s7, 24
	s_mul_hi_u32 s10, s6, 24
	s_mul_i32 s11, s6, 24
	s_add_i32 s10, s10, s9
	s_waitcnt vmcnt(0)
	v_add_co_u32 v8, vcc_lo, v4, s11
	v_add_co_ci_u32_e32 v9, vcc_lo, s10, v5, vcc_lo
	s_and_saveexec_b32 s9, s0
	s_cbranch_execz .LBB3_95
; %bb.94:
	v_dual_mov_b32 v10, s8 :: v_dual_mov_b32 v11, v2
	v_dual_mov_b32 v12, 2 :: v_dual_mov_b32 v13, 1
	global_store_b128 v[8:9], v[10:13], off offset:8
.LBB3_95:
	s_or_b32 exec_lo, exec_lo, s9
	s_lshl_b64 s[6:7], s[6:7], 12
	s_mov_b32 s8, 0
	v_add_co_u32 v6, vcc_lo, v6, s6
	v_add_co_ci_u32_e32 v7, vcc_lo, s7, v7, vcc_lo
	s_mov_b32 s11, s8
	s_mov_b32 s9, s8
	s_mov_b32 s10, s8
	v_and_or_b32 v0, 0xffffff1f, v0, 32
	v_dual_mov_b32 v3, v2 :: v_dual_lshlrev_b32 v14, 6, v33
	v_readfirstlane_b32 s6, v6
	v_readfirstlane_b32 s7, v7
	v_dual_mov_b32 v13, s11 :: v_dual_mov_b32 v12, s10
	v_dual_mov_b32 v11, s9 :: v_dual_mov_b32 v10, s8
	s_clause 0x3
	global_store_b128 v14, v[0:3], s[6:7]
	global_store_b128 v14, v[10:13], s[6:7] offset:16
	global_store_b128 v14, v[10:13], s[6:7] offset:32
	;; [unrolled: 1-line block ×3, first 2 shown]
	s_and_saveexec_b32 s6, s0
	s_cbranch_execz .LBB3_102
; %bb.96:
	v_mov_b32_e32 v6, 0
	s_mov_b32 s7, exec_lo
	s_clause 0x1
	global_load_b64 v[12:13], v6, s[2:3] offset:32 glc
	global_load_b64 v[0:1], v6, s[2:3] offset:40
	v_dual_mov_b32 v11, s5 :: v_dual_mov_b32 v10, s4
	s_waitcnt vmcnt(0)
	v_and_b32_e32 v1, s5, v1
	v_and_b32_e32 v0, s4, v0
	s_delay_alu instid0(VALU_DEP_2) | instskip(NEXT) | instid1(VALU_DEP_2)
	v_mul_lo_u32 v1, v1, 24
	v_mul_hi_u32 v2, v0, 24
	v_mul_lo_u32 v0, v0, 24
	s_delay_alu instid0(VALU_DEP_2) | instskip(NEXT) | instid1(VALU_DEP_2)
	v_add_nc_u32_e32 v1, v2, v1
	v_add_co_u32 v4, vcc_lo, v4, v0
	s_delay_alu instid0(VALU_DEP_2)
	v_add_co_ci_u32_e32 v5, vcc_lo, v5, v1, vcc_lo
	global_store_b64 v[4:5], v[12:13], off
	s_waitcnt_vscnt null, 0x0
	global_atomic_cmpswap_b64 v[2:3], v6, v[10:13], s[2:3] offset:32 glc
	s_waitcnt vmcnt(0)
	v_cmpx_ne_u64_e64 v[2:3], v[12:13]
	s_cbranch_execz .LBB3_98
.LBB3_97:                               ; =>This Inner Loop Header: Depth=1
	v_dual_mov_b32 v0, s4 :: v_dual_mov_b32 v1, s5
	s_sleep 1
	global_store_b64 v[4:5], v[2:3], off
	s_waitcnt_vscnt null, 0x0
	global_atomic_cmpswap_b64 v[0:1], v6, v[0:3], s[2:3] offset:32 glc
	s_waitcnt vmcnt(0)
	v_cmp_eq_u64_e32 vcc_lo, v[0:1], v[2:3]
	v_dual_mov_b32 v3, v1 :: v_dual_mov_b32 v2, v0
	s_or_b32 s8, vcc_lo, s8
	s_delay_alu instid0(SALU_CYCLE_1)
	s_and_not1_b32 exec_lo, exec_lo, s8
	s_cbranch_execnz .LBB3_97
.LBB3_98:
	s_or_b32 exec_lo, exec_lo, s7
	v_mov_b32_e32 v3, 0
	s_mov_b32 s8, exec_lo
	s_mov_b32 s7, exec_lo
	v_mbcnt_lo_u32_b32 v2, s8, 0
	global_load_b64 v[0:1], v3, s[2:3] offset:16
	v_cmpx_eq_u32_e32 0, v2
	s_cbranch_execz .LBB3_100
; %bb.99:
	s_bcnt1_i32_b32 s8, s8
	s_delay_alu instid0(SALU_CYCLE_1)
	v_mov_b32_e32 v2, s8
	s_waitcnt vmcnt(0)
	global_atomic_add_u64 v[0:1], v[2:3], off offset:8
.LBB3_100:
	s_or_b32 exec_lo, exec_lo, s7
	s_waitcnt vmcnt(0)
	global_load_b64 v[2:3], v[0:1], off offset:16
	s_waitcnt vmcnt(0)
	v_cmp_eq_u64_e32 vcc_lo, 0, v[2:3]
	s_cbranch_vccnz .LBB3_102
; %bb.101:
	global_load_b32 v0, v[0:1], off offset:24
	s_waitcnt vmcnt(0)
	v_dual_mov_b32 v1, 0 :: v_dual_and_b32 v4, 0xffffff, v0
	s_waitcnt_vscnt null, 0x0
	global_store_b64 v[2:3], v[0:1], off
	v_readfirstlane_b32 m0, v4
	s_sendmsg sendmsg(MSG_INTERRUPT)
.LBB3_102:
	s_or_b32 exec_lo, exec_lo, s6
	s_branch .LBB3_106
	.p2align	6
.LBB3_103:                              ;   in Loop: Header=BB3_106 Depth=1
	s_or_b32 exec_lo, exec_lo, s6
	s_delay_alu instid0(VALU_DEP_1) | instskip(NEXT) | instid1(VALU_DEP_1)
	v_readfirstlane_b32 s6, v0
	s_cmp_eq_u32 s6, 0
	s_cbranch_scc1 .LBB3_105
; %bb.104:                              ;   in Loop: Header=BB3_106 Depth=1
	s_sleep 1
	s_cbranch_execnz .LBB3_106
	s_branch .LBB3_109
	.p2align	6
.LBB3_105:
	s_branch .LBB3_109
.LBB3_106:                              ; =>This Inner Loop Header: Depth=1
	v_mov_b32_e32 v0, 1
	s_and_saveexec_b32 s6, s0
	s_cbranch_execz .LBB3_103
; %bb.107:                              ;   in Loop: Header=BB3_106 Depth=1
	global_load_b32 v0, v[8:9], off offset:20 glc
	s_waitcnt vmcnt(0)
	buffer_gl1_inv
	buffer_gl0_inv
	v_and_b32_e32 v0, 1, v0
	s_branch .LBB3_103
.LBB3_108:
	s_or_b32 exec_lo, exec_lo, s1
	s_waitcnt vmcnt(0) lgkmcnt(0)
	s_setpc_b64 s[30:31]
.LBB3_109:
	s_and_saveexec_b32 s6, s0
	s_cbranch_execz .LBB3_113
; %bb.110:
	v_mov_b32_e32 v6, 0
	s_clause 0x2
	global_load_b64 v[2:3], v6, s[2:3] offset:40
	global_load_b64 v[7:8], v6, s[2:3] offset:24 glc
	global_load_b64 v[4:5], v6, s[2:3]
	s_waitcnt vmcnt(2)
	v_add_co_u32 v9, vcc_lo, v2, 1
	v_add_co_ci_u32_e32 v10, vcc_lo, 0, v3, vcc_lo
	s_delay_alu instid0(VALU_DEP_2) | instskip(NEXT) | instid1(VALU_DEP_2)
	v_add_co_u32 v0, vcc_lo, v9, s4
	v_add_co_ci_u32_e32 v1, vcc_lo, s5, v10, vcc_lo
	s_delay_alu instid0(VALU_DEP_1) | instskip(SKIP_1) | instid1(VALU_DEP_1)
	v_cmp_eq_u64_e32 vcc_lo, 0, v[0:1]
	v_dual_cndmask_b32 v1, v1, v10 :: v_dual_cndmask_b32 v0, v0, v9
	v_and_b32_e32 v3, v1, v3
	s_delay_alu instid0(VALU_DEP_2) | instskip(NEXT) | instid1(VALU_DEP_2)
	v_and_b32_e32 v2, v0, v2
	v_mul_lo_u32 v3, v3, 24
	s_delay_alu instid0(VALU_DEP_2) | instskip(SKIP_1) | instid1(VALU_DEP_2)
	v_mul_hi_u32 v9, v2, 24
	v_mul_lo_u32 v2, v2, 24
	v_add_nc_u32_e32 v3, v9, v3
	s_waitcnt vmcnt(0)
	s_delay_alu instid0(VALU_DEP_2) | instskip(SKIP_1) | instid1(VALU_DEP_3)
	v_add_co_u32 v4, vcc_lo, v4, v2
	v_mov_b32_e32 v2, v7
	v_add_co_ci_u32_e32 v5, vcc_lo, v5, v3, vcc_lo
	v_mov_b32_e32 v3, v8
	global_store_b64 v[4:5], v[7:8], off
	s_waitcnt_vscnt null, 0x0
	global_atomic_cmpswap_b64 v[2:3], v6, v[0:3], s[2:3] offset:24 glc
	s_waitcnt vmcnt(0)
	v_cmp_ne_u64_e32 vcc_lo, v[2:3], v[7:8]
	s_and_b32 exec_lo, exec_lo, vcc_lo
	s_cbranch_execz .LBB3_113
; %bb.111:
	s_mov_b32 s0, 0
.LBB3_112:                              ; =>This Inner Loop Header: Depth=1
	s_sleep 1
	global_store_b64 v[4:5], v[2:3], off
	s_waitcnt_vscnt null, 0x0
	global_atomic_cmpswap_b64 v[7:8], v6, v[0:3], s[2:3] offset:24 glc
	s_waitcnt vmcnt(0)
	v_cmp_eq_u64_e32 vcc_lo, v[7:8], v[2:3]
	v_dual_mov_b32 v2, v7 :: v_dual_mov_b32 v3, v8
	s_or_b32 s0, vcc_lo, s0
	s_delay_alu instid0(SALU_CYCLE_1)
	s_and_not1_b32 exec_lo, exec_lo, s0
	s_cbranch_execnz .LBB3_112
.LBB3_113:
	s_or_b32 exec_lo, exec_lo, s6
	s_delay_alu instid0(SALU_CYCLE_1)
	s_or_b32 exec_lo, exec_lo, s1
	s_waitcnt lgkmcnt(0)
	s_setpc_b64 s[30:31]
.Lfunc_end3:
	.size	__ockl_fprintf_append_string_n, .Lfunc_end3-__ockl_fprintf_append_string_n
                                        ; -- End function
	.section	.AMDGPU.csdata,"",@progbits
; Function info:
; codeLenInByte = 4740
; NumSgprs: 34
; NumVgprs: 36
; ScratchSize: 0
; MemoryBound: 0
	.text
	.p2align	2                               ; -- Begin function __assert_fail
	.type	__assert_fail,@function
__assert_fail:                          ; @__assert_fail
; %bb.0:
	s_waitcnt vmcnt(0) expcnt(0) lgkmcnt(0)
	s_mov_b32 s20, s33
	s_mov_b32 s33, s32
	s_or_saveexec_b32 s0, -1
	scratch_store_b32 off, v40, s33 offset:48 ; 4-byte Folded Spill
	s_mov_b32 exec_lo, s0
	v_writelane_b32 v40, s30, 0
	s_add_i32 s32, s32, 64
	v_writelane_b32 v40, s31, 1
	s_getpc_b64 s[0:1]
	s_add_u32 s0, s0, __const.__assert_fail.fmt@rel32@lo+4
	s_addc_u32 s1, s1, __const.__assert_fail.fmt@rel32@hi+12
	s_getpc_b64 s[2:3]
	s_add_u32 s2, s2, __const.__assert_fail.fmt@rel32@lo+20
	s_addc_u32 s3, s3, __const.__assert_fail.fmt@rel32@hi+28
	v_mbcnt_lo_u32_b32 v48, -1, 0
	s_clause 0x1
	s_load_b128 s[4:7], s[0:1], 0x0
	s_load_b128 s[12:15], s[2:3], 0x0
	s_load_b64 s[2:3], s[8:9], 0x50
	v_dual_mov_b32 v9, v1 :: v_dual_mov_b32 v8, v0
	v_mov_b32_e32 v18, 0x73256020
	v_readfirstlane_b32 s0, v48
	v_dual_mov_b32 v0, 0 :: v_dual_mov_b32 v7, v4
	v_dual_mov_b32 v6, v3 :: v_dual_mov_b32 v3, 0
	v_mov_b32_e32 v4, 0xa2e
	v_mov_b32_e32 v19, 0x61662027
	v_dual_mov_b32 v20, 0x64656c69 :: v_dual_mov_b32 v1, 0
	v_cmp_eq_u32_e64 s0, s0, v48
	s_waitcnt lgkmcnt(0)
	v_dual_mov_b32 v13, s7 :: v_dual_mov_b32 v12, s6
	v_dual_mov_b32 v11, s5 :: v_dual_mov_b32 v10, s4
	;; [unrolled: 1-line block ×4, first 2 shown]
	s_clause 0x4
	scratch_store_b128 off, v[10:13], s33
	scratch_store_b128 off, v[14:17], s33 offset:16
	scratch_store_b8 off, v3, s33 offset:46
	scratch_store_b16 off, v4, s33 offset:44
	scratch_store_b96 off, v[18:20], s33 offset:32
	s_and_saveexec_b32 s1, s0
	s_cbranch_execz .LBB4_6
; %bb.1:
	global_load_b64 v[12:13], v3, s[2:3] offset:24 glc
	s_waitcnt vmcnt(0)
	buffer_gl1_inv
	buffer_gl0_inv
	s_clause 0x1
	global_load_b64 v[0:1], v3, s[2:3] offset:40
	global_load_b64 v[4:5], v3, s[2:3]
	s_mov_b32 s4, exec_lo
	s_waitcnt vmcnt(1)
	v_and_b32_e32 v1, v1, v13
	v_and_b32_e32 v0, v0, v12
	s_delay_alu instid0(VALU_DEP_2) | instskip(NEXT) | instid1(VALU_DEP_2)
	v_mul_lo_u32 v1, v1, 24
	v_mul_hi_u32 v10, v0, 24
	v_mul_lo_u32 v0, v0, 24
	s_delay_alu instid0(VALU_DEP_2) | instskip(SKIP_1) | instid1(VALU_DEP_2)
	v_add_nc_u32_e32 v1, v10, v1
	s_waitcnt vmcnt(0)
	v_add_co_u32 v0, vcc_lo, v4, v0
	s_delay_alu instid0(VALU_DEP_2)
	v_add_co_ci_u32_e32 v1, vcc_lo, v5, v1, vcc_lo
	global_load_b64 v[10:11], v[0:1], off glc
	s_waitcnt vmcnt(0)
	global_atomic_cmpswap_b64 v[0:1], v3, v[10:13], s[2:3] offset:24 glc
	s_waitcnt vmcnt(0)
	buffer_gl1_inv
	buffer_gl0_inv
	v_cmpx_ne_u64_e64 v[0:1], v[12:13]
	s_cbranch_execz .LBB4_5
; %bb.2:
	s_mov_b32 s5, 0
	.p2align	6
.LBB4_3:                                ; =>This Inner Loop Header: Depth=1
	s_sleep 1
	s_clause 0x1
	global_load_b64 v[4:5], v3, s[2:3] offset:40
	global_load_b64 v[10:11], v3, s[2:3]
	v_dual_mov_b32 v13, v1 :: v_dual_mov_b32 v12, v0
	s_waitcnt vmcnt(1)
	s_delay_alu instid0(VALU_DEP_1) | instskip(SKIP_1) | instid1(VALU_DEP_1)
	v_and_b32_e32 v4, v4, v12
	s_waitcnt vmcnt(0)
	v_mad_u64_u32 v[0:1], null, v4, 24, v[10:11]
	v_and_b32_e32 v10, v5, v13
	s_delay_alu instid0(VALU_DEP_1) | instskip(NEXT) | instid1(VALU_DEP_1)
	v_mad_u64_u32 v[4:5], null, v10, 24, v[1:2]
	v_mov_b32_e32 v1, v4
	global_load_b64 v[10:11], v[0:1], off glc
	s_waitcnt vmcnt(0)
	global_atomic_cmpswap_b64 v[0:1], v3, v[10:13], s[2:3] offset:24 glc
	s_waitcnt vmcnt(0)
	buffer_gl1_inv
	buffer_gl0_inv
	v_cmp_eq_u64_e32 vcc_lo, v[0:1], v[12:13]
	s_or_b32 s5, vcc_lo, s5
	s_delay_alu instid0(SALU_CYCLE_1)
	s_and_not1_b32 exec_lo, exec_lo, s5
	s_cbranch_execnz .LBB4_3
; %bb.4:
	s_or_b32 exec_lo, exec_lo, s5
.LBB4_5:
	s_delay_alu instid0(SALU_CYCLE_1)
	s_or_b32 exec_lo, exec_lo, s4
.LBB4_6:
	s_delay_alu instid0(SALU_CYCLE_1)
	s_or_b32 exec_lo, exec_lo, s1
	s_clause 0x1
	global_load_b64 v[4:5], v3, s[2:3] offset:40
	global_load_b128 v[14:17], v3, s[2:3]
	v_readfirstlane_b32 s4, v0
	v_readfirstlane_b32 s5, v1
	s_mov_b32 s1, exec_lo
	s_waitcnt vmcnt(1)
	v_readfirstlane_b32 s6, v4
	v_readfirstlane_b32 s7, v5
	s_delay_alu instid0(VALU_DEP_1) | instskip(NEXT) | instid1(SALU_CYCLE_1)
	s_and_b64 s[6:7], s[4:5], s[6:7]
	s_mul_i32 s10, s7, 24
	s_mul_hi_u32 s11, s6, 24
	s_mul_i32 s12, s6, 24
	s_add_i32 s11, s11, s10
	s_waitcnt vmcnt(0)
	v_add_co_u32 v0, vcc_lo, v14, s12
	v_add_co_ci_u32_e32 v1, vcc_lo, s11, v15, vcc_lo
	s_and_saveexec_b32 s10, s0
	s_cbranch_execz .LBB4_8
; %bb.7:
	v_dual_mov_b32 v10, s1 :: v_dual_mov_b32 v11, 0
	v_dual_mov_b32 v12, 2 :: v_dual_mov_b32 v13, 1
	global_store_b128 v[0:1], v[10:13], off offset:8
.LBB4_8:
	s_or_b32 exec_lo, exec_lo, s10
	s_lshl_b64 s[6:7], s[6:7], 12
	v_dual_mov_b32 v12, 1 :: v_dual_lshlrev_b32 v39, 6, v48
	v_add_co_u32 v3, vcc_lo, v16, s6
	v_add_co_ci_u32_e32 v4, vcc_lo, s7, v17, vcc_lo
	v_dual_mov_b32 v11, 0 :: v_dual_mov_b32 v10, 33
	s_mov_b32 s12, 0
	s_delay_alu instid0(VALU_DEP_3)
	v_readfirstlane_b32 s6, v3
	s_mov_b32 s15, s12
	v_add_co_u32 v3, vcc_lo, v3, v39
	s_mov_b32 s13, s12
	s_mov_b32 s14, s12
	v_mov_b32_e32 v13, v11
	v_readfirstlane_b32 s7, v4
	v_dual_mov_b32 v19, s15 :: v_dual_mov_b32 v16, s12
	v_add_co_ci_u32_e32 v4, vcc_lo, 0, v4, vcc_lo
	v_dual_mov_b32 v18, s14 :: v_dual_mov_b32 v17, s13
	s_clause 0x3
	global_store_b128 v39, v[10:13], s[6:7]
	global_store_b128 v39, v[16:19], s[6:7] offset:16
	global_store_b128 v39, v[16:19], s[6:7] offset:32
	;; [unrolled: 1-line block ×3, first 2 shown]
	s_and_saveexec_b32 s1, s0
	s_cbranch_execz .LBB4_16
; %bb.9:
	s_clause 0x1
	global_load_b64 v[20:21], v11, s[2:3] offset:32 glc
	global_load_b64 v[12:13], v11, s[2:3] offset:40
	s_mov_b32 s6, exec_lo
	v_dual_mov_b32 v18, s4 :: v_dual_mov_b32 v19, s5
	s_waitcnt vmcnt(0)
	v_and_b32_e32 v5, s5, v13
	v_and_b32_e32 v10, s4, v12
	s_delay_alu instid0(VALU_DEP_2) | instskip(NEXT) | instid1(VALU_DEP_2)
	v_mul_lo_u32 v5, v5, 24
	v_mul_hi_u32 v12, v10, 24
	v_mul_lo_u32 v10, v10, 24
	s_delay_alu instid0(VALU_DEP_2) | instskip(NEXT) | instid1(VALU_DEP_2)
	v_add_nc_u32_e32 v5, v12, v5
	v_add_co_u32 v16, vcc_lo, v14, v10
	s_delay_alu instid0(VALU_DEP_2)
	v_add_co_ci_u32_e32 v17, vcc_lo, v15, v5, vcc_lo
	global_store_b64 v[16:17], v[20:21], off
	s_waitcnt_vscnt null, 0x0
	global_atomic_cmpswap_b64 v[14:15], v11, v[18:21], s[2:3] offset:32 glc
	s_waitcnt vmcnt(0)
	v_cmpx_ne_u64_e64 v[14:15], v[20:21]
	s_cbranch_execz .LBB4_12
; %bb.10:
	s_mov_b32 s7, 0
.LBB4_11:                               ; =>This Inner Loop Header: Depth=1
	v_dual_mov_b32 v12, s4 :: v_dual_mov_b32 v13, s5
	s_sleep 1
	global_store_b64 v[16:17], v[14:15], off
	s_waitcnt_vscnt null, 0x0
	global_atomic_cmpswap_b64 v[12:13], v11, v[12:15], s[2:3] offset:32 glc
	s_waitcnt vmcnt(0)
	v_cmp_eq_u64_e32 vcc_lo, v[12:13], v[14:15]
	v_dual_mov_b32 v15, v13 :: v_dual_mov_b32 v14, v12
	s_or_b32 s7, vcc_lo, s7
	s_delay_alu instid0(SALU_CYCLE_1)
	s_and_not1_b32 exec_lo, exec_lo, s7
	s_cbranch_execnz .LBB4_11
.LBB4_12:
	s_or_b32 exec_lo, exec_lo, s6
	v_mov_b32_e32 v13, 0
	s_mov_b32 s7, exec_lo
	s_mov_b32 s6, exec_lo
	v_mbcnt_lo_u32_b32 v5, s7, 0
	global_load_b64 v[10:11], v13, s[2:3] offset:16
	v_cmpx_eq_u32_e32 0, v5
	s_cbranch_execz .LBB4_14
; %bb.13:
	s_bcnt1_i32_b32 s7, s7
	s_delay_alu instid0(SALU_CYCLE_1)
	v_mov_b32_e32 v12, s7
	s_waitcnt vmcnt(0)
	global_atomic_add_u64 v[10:11], v[12:13], off offset:8
.LBB4_14:
	s_or_b32 exec_lo, exec_lo, s6
	s_waitcnt vmcnt(0)
	global_load_b64 v[12:13], v[10:11], off offset:16
	s_waitcnt vmcnt(0)
	v_cmp_eq_u64_e32 vcc_lo, 0, v[12:13]
	s_cbranch_vccnz .LBB4_16
; %bb.15:
	global_load_b32 v10, v[10:11], off offset:24
	v_mov_b32_e32 v11, 0
	s_waitcnt vmcnt(0)
	v_and_b32_e32 v5, 0xffffff, v10
	s_waitcnt_vscnt null, 0x0
	global_store_b64 v[12:13], v[10:11], off
	v_readfirstlane_b32 m0, v5
	s_sendmsg sendmsg(MSG_INTERRUPT)
.LBB4_16:
	s_or_b32 exec_lo, exec_lo, s1
	s_branch .LBB4_20
	.p2align	6
.LBB4_17:                               ;   in Loop: Header=BB4_20 Depth=1
	s_or_b32 exec_lo, exec_lo, s1
	s_delay_alu instid0(VALU_DEP_1) | instskip(NEXT) | instid1(VALU_DEP_1)
	v_readfirstlane_b32 s1, v5
	s_cmp_eq_u32 s1, 0
	s_cbranch_scc1 .LBB4_19
; %bb.18:                               ;   in Loop: Header=BB4_20 Depth=1
	s_sleep 1
	s_cbranch_execnz .LBB4_20
	s_branch .LBB4_22
	.p2align	6
.LBB4_19:
	s_branch .LBB4_22
.LBB4_20:                               ; =>This Inner Loop Header: Depth=1
	v_mov_b32_e32 v5, 1
	s_and_saveexec_b32 s1, s0
	s_cbranch_execz .LBB4_17
; %bb.21:                               ;   in Loop: Header=BB4_20 Depth=1
	global_load_b32 v5, v[0:1], off offset:20 glc
	s_waitcnt vmcnt(0)
	buffer_gl1_inv
	buffer_gl0_inv
	v_and_b32_e32 v5, 1, v5
	s_branch .LBB4_17
.LBB4_22:
	global_load_b64 v[14:15], v[3:4], off
	s_and_saveexec_b32 s1, s0
	s_cbranch_execz .LBB4_26
; %bb.23:
	v_mov_b32_e32 v3, 0
	s_clause 0x2
	global_load_b64 v[0:1], v3, s[2:3] offset:40
	global_load_b64 v[4:5], v3, s[2:3] offset:24 glc
	global_load_b64 v[12:13], v3, s[2:3]
	s_waitcnt vmcnt(2)
	v_add_co_u32 v16, vcc_lo, v0, 1
	v_add_co_ci_u32_e32 v17, vcc_lo, 0, v1, vcc_lo
	s_delay_alu instid0(VALU_DEP_2) | instskip(NEXT) | instid1(VALU_DEP_2)
	v_add_co_u32 v10, vcc_lo, v16, s4
	v_add_co_ci_u32_e32 v11, vcc_lo, s5, v17, vcc_lo
	s_delay_alu instid0(VALU_DEP_1) | instskip(SKIP_1) | instid1(VALU_DEP_1)
	v_cmp_eq_u64_e32 vcc_lo, 0, v[10:11]
	v_dual_cndmask_b32 v10, v10, v16 :: v_dual_cndmask_b32 v11, v11, v17
	v_and_b32_e32 v0, v10, v0
	s_delay_alu instid0(VALU_DEP_2) | instskip(NEXT) | instid1(VALU_DEP_2)
	v_and_b32_e32 v1, v11, v1
	v_mul_hi_u32 v16, v0, 24
	v_mul_lo_u32 v0, v0, 24
	s_waitcnt vmcnt(0)
	s_delay_alu instid0(VALU_DEP_1) | instskip(SKIP_2) | instid1(VALU_DEP_1)
	v_add_co_u32 v0, vcc_lo, v12, v0
	v_mov_b32_e32 v12, v4
	v_mul_lo_u32 v1, v1, 24
	v_add_nc_u32_e32 v1, v16, v1
	s_delay_alu instid0(VALU_DEP_1)
	v_add_co_ci_u32_e32 v1, vcc_lo, v13, v1, vcc_lo
	v_mov_b32_e32 v13, v5
	global_store_b64 v[0:1], v[4:5], off
	s_waitcnt_vscnt null, 0x0
	global_atomic_cmpswap_b64 v[12:13], v3, v[10:13], s[2:3] offset:24 glc
	s_waitcnt vmcnt(0)
	v_cmp_ne_u64_e32 vcc_lo, v[12:13], v[4:5]
	s_and_b32 exec_lo, exec_lo, vcc_lo
	s_cbranch_execz .LBB4_26
; %bb.24:
	s_mov_b32 s0, 0
.LBB4_25:                               ; =>This Inner Loop Header: Depth=1
	s_sleep 1
	global_store_b64 v[0:1], v[12:13], off
	s_waitcnt_vscnt null, 0x0
	global_atomic_cmpswap_b64 v[4:5], v3, v[10:13], s[2:3] offset:24 glc
	s_waitcnt vmcnt(0)
	v_cmp_eq_u64_e32 vcc_lo, v[4:5], v[12:13]
	v_dual_mov_b32 v13, v5 :: v_dual_mov_b32 v12, v4
	s_or_b32 s0, vcc_lo, s0
	s_delay_alu instid0(SALU_CYCLE_1)
	s_and_not1_b32 exec_lo, exec_lo, s0
	s_cbranch_execnz .LBB4_25
.LBB4_26:
	s_or_b32 exec_lo, exec_lo, s1
	v_mov_b32_e32 v1, s33
	s_mov_b32 s0, 0
.LBB4_27:                               ; =>This Inner Loop Header: Depth=1
	scratch_load_u8 v3, v1, off
	v_add_nc_u32_e32 v0, 1, v1
	s_delay_alu instid0(VALU_DEP_1) | instskip(SKIP_3) | instid1(SALU_CYCLE_1)
	v_mov_b32_e32 v1, v0
	s_waitcnt vmcnt(0)
	v_cmp_eq_u16_e32 vcc_lo, 0, v3
	s_or_b32 s0, vcc_lo, s0
	s_and_not1_b32 exec_lo, exec_lo, s0
	s_cbranch_execnz .LBB4_27
; %bb.28:
	s_or_b32 exec_lo, exec_lo, s0
	v_cmp_ne_u32_e64 s0, -1, s33
	s_delay_alu instid0(VALU_DEP_1)
	s_and_b32 vcc_lo, exec_lo, s0
	s_cbranch_vccz .LBB4_113
; %bb.29:
	v_subrev_nc_u32_e32 v0, s33, v0
	v_dual_mov_b32 v38, s33 :: v_dual_and_b32 v5, 2, v14
	v_dual_mov_b32 v17, 0 :: v_dual_and_b32 v10, -3, v14
	v_dual_mov_b32 v11, v15 :: v_dual_mov_b32 v18, 2
	s_delay_alu instid0(VALU_DEP_4)
	v_ashrrev_i32_e32 v1, 31, v0
	v_mov_b32_e32 v19, 1
	s_mov_b32 s11, 0
	s_mov_b32 s10, 0
	s_branch .LBB4_31
.LBB4_30:                               ;   in Loop: Header=BB4_31 Depth=1
	s_or_b32 exec_lo, exec_lo, s1
	v_sub_co_u32 v0, vcc_lo, v0, v3
	v_sub_co_ci_u32_e32 v1, vcc_lo, v1, v4, vcc_lo
	v_add_nc_u32_e32 v38, v38, v3
	s_delay_alu instid0(VALU_DEP_2) | instskip(SKIP_1) | instid1(SALU_CYCLE_1)
	v_cmp_eq_u64_e32 vcc_lo, 0, v[0:1]
	s_or_b32 s10, vcc_lo, s10
	s_and_not1_b32 exec_lo, exec_lo, s10
	s_cbranch_execz .LBB4_114
.LBB4_31:                               ; =>This Loop Header: Depth=1
                                        ;     Child Loop BB4_34 Depth 2
                                        ;     Child Loop BB4_42 Depth 2
	;; [unrolled: 1-line block ×11, first 2 shown]
	v_cmp_gt_u64_e32 vcc_lo, 56, v[0:1]
	s_mov_b32 s4, exec_lo
                                        ; implicit-def: $vgpr12_vgpr13
                                        ; implicit-def: $sgpr1
	v_dual_cndmask_b32 v4, 0, v1 :: v_dual_cndmask_b32 v3, 56, v0
	v_cmpx_gt_u64_e32 8, v[0:1]
	s_xor_b32 s4, exec_lo, s4
	s_cbranch_execz .LBB4_37
; %bb.32:                               ;   in Loop: Header=BB4_31 Depth=1
	s_waitcnt vmcnt(0)
	v_mov_b32_e32 v12, 0
	v_mov_b32_e32 v13, 0
	s_mov_b64 s[0:1], 0
	s_mov_b32 s5, exec_lo
	v_cmpx_ne_u64_e32 0, v[0:1]
	s_cbranch_execz .LBB4_36
; %bb.33:                               ;   in Loop: Header=BB4_31 Depth=1
	v_lshlrev_b64 v[20:21], 3, v[3:4]
	v_mov_b32_e32 v12, 0
	v_dual_mov_b32 v13, 0 :: v_dual_mov_b32 v16, v38
	s_mov_b32 s6, 0
.LBB4_34:                               ;   Parent Loop BB4_31 Depth=1
                                        ; =>  This Inner Loop Header: Depth=2
	scratch_load_u8 v21, v16, off
	v_mov_b32_e32 v22, s11
	v_add_nc_u32_e32 v16, 1, v16
	s_waitcnt vmcnt(0)
	v_and_b32_e32 v21, 0xffff, v21
	s_delay_alu instid0(VALU_DEP_1) | instskip(SKIP_3) | instid1(VALU_DEP_2)
	v_lshlrev_b64 v[21:22], s0, v[21:22]
	s_add_u32 s0, s0, 8
	s_addc_u32 s1, s1, 0
	v_cmp_eq_u32_e32 vcc_lo, s0, v20
	v_or_b32_e32 v13, v22, v13
	s_delay_alu instid0(VALU_DEP_3) | instskip(SKIP_1) | instid1(SALU_CYCLE_1)
	v_or_b32_e32 v12, v21, v12
	s_or_b32 s6, vcc_lo, s6
	s_and_not1_b32 exec_lo, exec_lo, s6
	s_cbranch_execnz .LBB4_34
; %bb.35:                               ;   in Loop: Header=BB4_31 Depth=1
	s_or_b32 exec_lo, exec_lo, s6
.LBB4_36:                               ;   in Loop: Header=BB4_31 Depth=1
	s_delay_alu instid0(SALU_CYCLE_1)
	s_or_b32 exec_lo, exec_lo, s5
	s_mov_b32 s1, 0
.LBB4_37:                               ;   in Loop: Header=BB4_31 Depth=1
	s_or_saveexec_b32 s0, s4
	v_mov_b32_e32 v22, s1
	v_mov_b32_e32 v16, v38
	s_xor_b32 exec_lo, exec_lo, s0
	s_cbranch_execz .LBB4_39
; %bb.38:                               ;   in Loop: Header=BB4_31 Depth=1
	scratch_load_b64 v[12:13], v38, off
	v_add_nc_u32_e32 v22, -8, v3
	s_waitcnt vmcnt(0)
	v_and_b32_e32 v16, 0xff, v13
	v_and_b32_e32 v20, 0xff00, v13
	;; [unrolled: 1-line block ×4, first 2 shown]
	v_or3_b32 v12, v12, 0, 0
	s_delay_alu instid0(VALU_DEP_4) | instskip(NEXT) | instid1(VALU_DEP_1)
	v_or_b32_e32 v16, v16, v20
	v_or3_b32 v13, v16, v21, v13
	v_add_nc_u32_e32 v16, 8, v38
.LBB4_39:                               ;   in Loop: Header=BB4_31 Depth=1
	s_or_b32 exec_lo, exec_lo, s0
                                        ; implicit-def: $vgpr20_vgpr21
                                        ; implicit-def: $sgpr1
	s_delay_alu instid0(SALU_CYCLE_1)
	s_mov_b32 s0, exec_lo
	v_cmpx_gt_u32_e32 8, v22
	s_xor_b32 s4, exec_lo, s0
	s_cbranch_execz .LBB4_45
; %bb.40:                               ;   in Loop: Header=BB4_31 Depth=1
	v_mov_b32_e32 v20, 0
	v_mov_b32_e32 v21, 0
	s_mov_b32 s5, exec_lo
	v_cmpx_ne_u32_e32 0, v22
	s_cbranch_execz .LBB4_44
; %bb.41:                               ;   in Loop: Header=BB4_31 Depth=1
	v_mov_b32_e32 v20, 0
	v_mov_b32_e32 v21, 0
	s_mov_b64 s[0:1], 0
	s_mov_b32 s6, 0
	s_mov_b32 s7, 0
	.p2align	6
.LBB4_42:                               ;   Parent Loop BB4_31 Depth=1
                                        ; =>  This Inner Loop Header: Depth=2
	s_delay_alu instid0(SALU_CYCLE_1) | instskip(SKIP_1) | instid1(SALU_CYCLE_1)
	v_dual_mov_b32 v24, s11 :: v_dual_add_nc_u32 v23, s7, v16
	s_add_i32 s7, s7, 1
	v_cmp_eq_u32_e32 vcc_lo, s7, v22
	scratch_load_u8 v23, v23, off
	s_waitcnt vmcnt(0)
	v_and_b32_e32 v23, 0xffff, v23
	s_delay_alu instid0(VALU_DEP_1) | instskip(SKIP_3) | instid1(VALU_DEP_1)
	v_lshlrev_b64 v[23:24], s0, v[23:24]
	s_add_u32 s0, s0, 8
	s_addc_u32 s1, s1, 0
	s_or_b32 s6, vcc_lo, s6
	v_or_b32_e32 v21, v24, v21
	s_delay_alu instid0(VALU_DEP_2)
	v_or_b32_e32 v20, v23, v20
	s_and_not1_b32 exec_lo, exec_lo, s6
	s_cbranch_execnz .LBB4_42
; %bb.43:                               ;   in Loop: Header=BB4_31 Depth=1
	s_or_b32 exec_lo, exec_lo, s6
.LBB4_44:                               ;   in Loop: Header=BB4_31 Depth=1
	s_delay_alu instid0(SALU_CYCLE_1)
	s_or_b32 exec_lo, exec_lo, s5
	s_mov_b32 s1, 0
                                        ; implicit-def: $vgpr22
.LBB4_45:                               ;   in Loop: Header=BB4_31 Depth=1
	s_or_saveexec_b32 s0, s4
	v_mov_b32_e32 v24, s1
	s_xor_b32 exec_lo, exec_lo, s0
	s_cbranch_execz .LBB4_47
; %bb.46:                               ;   in Loop: Header=BB4_31 Depth=1
	scratch_load_b64 v[20:21], v16, off
	v_add_nc_u32_e32 v16, 8, v16
	s_waitcnt vmcnt(0)
	v_and_b32_e32 v23, 0xff, v21
	v_and_b32_e32 v24, 0xff00, v21
	v_and_b32_e32 v25, 0xff0000, v21
	v_and_b32_e32 v21, 0xff000000, v21
	v_or3_b32 v20, v20, 0, 0
	s_delay_alu instid0(VALU_DEP_4) | instskip(SKIP_1) | instid1(VALU_DEP_2)
	v_or_b32_e32 v23, v23, v24
	v_add_nc_u32_e32 v24, -8, v22
	v_or3_b32 v21, v23, v25, v21
.LBB4_47:                               ;   in Loop: Header=BB4_31 Depth=1
	s_or_b32 exec_lo, exec_lo, s0
                                        ; implicit-def: $sgpr1
	s_delay_alu instid0(SALU_CYCLE_1) | instskip(NEXT) | instid1(VALU_DEP_1)
	s_mov_b32 s0, exec_lo
	v_cmpx_gt_u32_e32 8, v24
	s_xor_b32 s4, exec_lo, s0
	s_cbranch_execz .LBB4_53
; %bb.48:                               ;   in Loop: Header=BB4_31 Depth=1
	v_mov_b32_e32 v22, 0
	v_mov_b32_e32 v23, 0
	s_mov_b32 s5, exec_lo
	v_cmpx_ne_u32_e32 0, v24
	s_cbranch_execz .LBB4_52
; %bb.49:                               ;   in Loop: Header=BB4_31 Depth=1
	v_mov_b32_e32 v22, 0
	v_mov_b32_e32 v23, 0
	s_mov_b64 s[0:1], 0
	s_mov_b32 s6, 0
	s_mov_b32 s7, 0
	.p2align	6
.LBB4_50:                               ;   Parent Loop BB4_31 Depth=1
                                        ; =>  This Inner Loop Header: Depth=2
	s_delay_alu instid0(SALU_CYCLE_1) | instskip(SKIP_1) | instid1(SALU_CYCLE_1)
	v_dual_mov_b32 v26, s11 :: v_dual_add_nc_u32 v25, s7, v16
	s_add_i32 s7, s7, 1
	v_cmp_eq_u32_e32 vcc_lo, s7, v24
	scratch_load_u8 v25, v25, off
	s_waitcnt vmcnt(0)
	v_and_b32_e32 v25, 0xffff, v25
	s_delay_alu instid0(VALU_DEP_1) | instskip(SKIP_3) | instid1(VALU_DEP_1)
	v_lshlrev_b64 v[25:26], s0, v[25:26]
	s_add_u32 s0, s0, 8
	s_addc_u32 s1, s1, 0
	s_or_b32 s6, vcc_lo, s6
	v_or_b32_e32 v23, v26, v23
	s_delay_alu instid0(VALU_DEP_2)
	v_or_b32_e32 v22, v25, v22
	s_and_not1_b32 exec_lo, exec_lo, s6
	s_cbranch_execnz .LBB4_50
; %bb.51:                               ;   in Loop: Header=BB4_31 Depth=1
	s_or_b32 exec_lo, exec_lo, s6
.LBB4_52:                               ;   in Loop: Header=BB4_31 Depth=1
	s_delay_alu instid0(SALU_CYCLE_1)
	s_or_b32 exec_lo, exec_lo, s5
	s_mov_b32 s1, 0
                                        ; implicit-def: $vgpr24
.LBB4_53:                               ;   in Loop: Header=BB4_31 Depth=1
	s_or_saveexec_b32 s0, s4
	v_mov_b32_e32 v26, s1
	s_xor_b32 exec_lo, exec_lo, s0
	s_cbranch_execz .LBB4_55
; %bb.54:                               ;   in Loop: Header=BB4_31 Depth=1
	scratch_load_b64 v[22:23], v16, off
	v_add_nc_u32_e32 v16, 8, v16
	s_waitcnt vmcnt(0)
	v_and_b32_e32 v25, 0xff, v23
	v_and_b32_e32 v26, 0xff00, v23
	;; [unrolled: 1-line block ×4, first 2 shown]
	v_or3_b32 v22, v22, 0, 0
	s_delay_alu instid0(VALU_DEP_4) | instskip(SKIP_1) | instid1(VALU_DEP_2)
	v_or_b32_e32 v25, v25, v26
	v_add_nc_u32_e32 v26, -8, v24
	v_or3_b32 v23, v25, v27, v23
.LBB4_55:                               ;   in Loop: Header=BB4_31 Depth=1
	s_or_b32 exec_lo, exec_lo, s0
                                        ; implicit-def: $vgpr24_vgpr25
                                        ; implicit-def: $sgpr1
	s_delay_alu instid0(SALU_CYCLE_1) | instskip(NEXT) | instid1(VALU_DEP_1)
	s_mov_b32 s0, exec_lo
	v_cmpx_gt_u32_e32 8, v26
	s_xor_b32 s4, exec_lo, s0
	s_cbranch_execz .LBB4_61
; %bb.56:                               ;   in Loop: Header=BB4_31 Depth=1
	v_mov_b32_e32 v24, 0
	v_mov_b32_e32 v25, 0
	s_mov_b32 s5, exec_lo
	v_cmpx_ne_u32_e32 0, v26
	s_cbranch_execz .LBB4_60
; %bb.57:                               ;   in Loop: Header=BB4_31 Depth=1
	v_mov_b32_e32 v24, 0
	v_mov_b32_e32 v25, 0
	s_mov_b64 s[0:1], 0
	s_mov_b32 s6, 0
	s_mov_b32 s7, 0
	.p2align	6
.LBB4_58:                               ;   Parent Loop BB4_31 Depth=1
                                        ; =>  This Inner Loop Header: Depth=2
	s_delay_alu instid0(SALU_CYCLE_1) | instskip(SKIP_1) | instid1(SALU_CYCLE_1)
	v_dual_mov_b32 v28, s11 :: v_dual_add_nc_u32 v27, s7, v16
	s_add_i32 s7, s7, 1
	v_cmp_eq_u32_e32 vcc_lo, s7, v26
	scratch_load_u8 v27, v27, off
	s_waitcnt vmcnt(0)
	v_and_b32_e32 v27, 0xffff, v27
	s_delay_alu instid0(VALU_DEP_1) | instskip(SKIP_3) | instid1(VALU_DEP_1)
	v_lshlrev_b64 v[27:28], s0, v[27:28]
	s_add_u32 s0, s0, 8
	s_addc_u32 s1, s1, 0
	s_or_b32 s6, vcc_lo, s6
	v_or_b32_e32 v25, v28, v25
	s_delay_alu instid0(VALU_DEP_2)
	v_or_b32_e32 v24, v27, v24
	s_and_not1_b32 exec_lo, exec_lo, s6
	s_cbranch_execnz .LBB4_58
; %bb.59:                               ;   in Loop: Header=BB4_31 Depth=1
	s_or_b32 exec_lo, exec_lo, s6
.LBB4_60:                               ;   in Loop: Header=BB4_31 Depth=1
	s_delay_alu instid0(SALU_CYCLE_1)
	s_or_b32 exec_lo, exec_lo, s5
	s_mov_b32 s1, 0
                                        ; implicit-def: $vgpr26
.LBB4_61:                               ;   in Loop: Header=BB4_31 Depth=1
	s_or_saveexec_b32 s0, s4
	v_mov_b32_e32 v28, s1
	s_xor_b32 exec_lo, exec_lo, s0
	s_cbranch_execz .LBB4_63
; %bb.62:                               ;   in Loop: Header=BB4_31 Depth=1
	scratch_load_b64 v[24:25], v16, off
	v_add_nc_u32_e32 v16, 8, v16
	s_waitcnt vmcnt(0)
	v_and_b32_e32 v27, 0xff, v25
	v_and_b32_e32 v28, 0xff00, v25
	;; [unrolled: 1-line block ×4, first 2 shown]
	v_or3_b32 v24, v24, 0, 0
	s_delay_alu instid0(VALU_DEP_4) | instskip(SKIP_1) | instid1(VALU_DEP_2)
	v_or_b32_e32 v27, v27, v28
	v_add_nc_u32_e32 v28, -8, v26
	v_or3_b32 v25, v27, v29, v25
.LBB4_63:                               ;   in Loop: Header=BB4_31 Depth=1
	s_or_b32 exec_lo, exec_lo, s0
                                        ; implicit-def: $sgpr1
	s_delay_alu instid0(SALU_CYCLE_1) | instskip(NEXT) | instid1(VALU_DEP_1)
	s_mov_b32 s0, exec_lo
	v_cmpx_gt_u32_e32 8, v28
	s_xor_b32 s4, exec_lo, s0
	s_cbranch_execz .LBB4_69
; %bb.64:                               ;   in Loop: Header=BB4_31 Depth=1
	v_mov_b32_e32 v26, 0
	v_mov_b32_e32 v27, 0
	s_mov_b32 s5, exec_lo
	v_cmpx_ne_u32_e32 0, v28
	s_cbranch_execz .LBB4_68
; %bb.65:                               ;   in Loop: Header=BB4_31 Depth=1
	v_mov_b32_e32 v26, 0
	v_mov_b32_e32 v27, 0
	s_mov_b64 s[0:1], 0
	s_mov_b32 s6, 0
	s_mov_b32 s7, 0
	.p2align	6
.LBB4_66:                               ;   Parent Loop BB4_31 Depth=1
                                        ; =>  This Inner Loop Header: Depth=2
	s_delay_alu instid0(SALU_CYCLE_1) | instskip(SKIP_1) | instid1(SALU_CYCLE_1)
	v_dual_mov_b32 v30, s11 :: v_dual_add_nc_u32 v29, s7, v16
	s_add_i32 s7, s7, 1
	v_cmp_eq_u32_e32 vcc_lo, s7, v28
	scratch_load_u8 v29, v29, off
	s_waitcnt vmcnt(0)
	v_and_b32_e32 v29, 0xffff, v29
	s_delay_alu instid0(VALU_DEP_1) | instskip(SKIP_3) | instid1(VALU_DEP_1)
	v_lshlrev_b64 v[29:30], s0, v[29:30]
	s_add_u32 s0, s0, 8
	s_addc_u32 s1, s1, 0
	s_or_b32 s6, vcc_lo, s6
	v_or_b32_e32 v27, v30, v27
	s_delay_alu instid0(VALU_DEP_2)
	v_or_b32_e32 v26, v29, v26
	s_and_not1_b32 exec_lo, exec_lo, s6
	s_cbranch_execnz .LBB4_66
; %bb.67:                               ;   in Loop: Header=BB4_31 Depth=1
	s_or_b32 exec_lo, exec_lo, s6
.LBB4_68:                               ;   in Loop: Header=BB4_31 Depth=1
	s_delay_alu instid0(SALU_CYCLE_1)
	s_or_b32 exec_lo, exec_lo, s5
	s_mov_b32 s1, 0
                                        ; implicit-def: $vgpr28
.LBB4_69:                               ;   in Loop: Header=BB4_31 Depth=1
	s_or_saveexec_b32 s0, s4
	v_mov_b32_e32 v30, s1
	s_xor_b32 exec_lo, exec_lo, s0
	s_cbranch_execz .LBB4_71
; %bb.70:                               ;   in Loop: Header=BB4_31 Depth=1
	scratch_load_b64 v[26:27], v16, off
	v_add_nc_u32_e32 v16, 8, v16
	s_waitcnt vmcnt(0)
	v_and_b32_e32 v29, 0xff, v27
	v_and_b32_e32 v30, 0xff00, v27
	;; [unrolled: 1-line block ×4, first 2 shown]
	v_or3_b32 v26, v26, 0, 0
	s_delay_alu instid0(VALU_DEP_4) | instskip(SKIP_1) | instid1(VALU_DEP_2)
	v_or_b32_e32 v29, v29, v30
	v_add_nc_u32_e32 v30, -8, v28
	v_or3_b32 v27, v29, v31, v27
.LBB4_71:                               ;   in Loop: Header=BB4_31 Depth=1
	s_or_b32 exec_lo, exec_lo, s0
                                        ; implicit-def: $vgpr28_vgpr29
                                        ; implicit-def: $sgpr1
	s_delay_alu instid0(SALU_CYCLE_1) | instskip(NEXT) | instid1(VALU_DEP_1)
	s_mov_b32 s0, exec_lo
	v_cmpx_gt_u32_e32 8, v30
	s_xor_b32 s4, exec_lo, s0
	s_cbranch_execz .LBB4_77
; %bb.72:                               ;   in Loop: Header=BB4_31 Depth=1
	v_mov_b32_e32 v28, 0
	v_mov_b32_e32 v29, 0
	s_mov_b32 s5, exec_lo
	v_cmpx_ne_u32_e32 0, v30
	s_cbranch_execz .LBB4_76
; %bb.73:                               ;   in Loop: Header=BB4_31 Depth=1
	v_mov_b32_e32 v28, 0
	v_mov_b32_e32 v29, 0
	s_mov_b64 s[0:1], 0
	s_mov_b32 s6, 0
	s_mov_b32 s7, 0
	.p2align	6
.LBB4_74:                               ;   Parent Loop BB4_31 Depth=1
                                        ; =>  This Inner Loop Header: Depth=2
	s_delay_alu instid0(SALU_CYCLE_1) | instskip(SKIP_1) | instid1(SALU_CYCLE_1)
	v_dual_mov_b32 v32, s11 :: v_dual_add_nc_u32 v31, s7, v16
	s_add_i32 s7, s7, 1
	v_cmp_eq_u32_e32 vcc_lo, s7, v30
	scratch_load_u8 v31, v31, off
	s_waitcnt vmcnt(0)
	v_and_b32_e32 v31, 0xffff, v31
	s_delay_alu instid0(VALU_DEP_1) | instskip(SKIP_3) | instid1(VALU_DEP_1)
	v_lshlrev_b64 v[31:32], s0, v[31:32]
	s_add_u32 s0, s0, 8
	s_addc_u32 s1, s1, 0
	s_or_b32 s6, vcc_lo, s6
	v_or_b32_e32 v29, v32, v29
	s_delay_alu instid0(VALU_DEP_2)
	v_or_b32_e32 v28, v31, v28
	s_and_not1_b32 exec_lo, exec_lo, s6
	s_cbranch_execnz .LBB4_74
; %bb.75:                               ;   in Loop: Header=BB4_31 Depth=1
	s_or_b32 exec_lo, exec_lo, s6
.LBB4_76:                               ;   in Loop: Header=BB4_31 Depth=1
	s_delay_alu instid0(SALU_CYCLE_1)
	s_or_b32 exec_lo, exec_lo, s5
	s_mov_b32 s1, 0
                                        ; implicit-def: $vgpr30
.LBB4_77:                               ;   in Loop: Header=BB4_31 Depth=1
	s_or_saveexec_b32 s0, s4
	v_mov_b32_e32 v32, s1
	s_xor_b32 exec_lo, exec_lo, s0
	s_cbranch_execz .LBB4_79
; %bb.78:                               ;   in Loop: Header=BB4_31 Depth=1
	scratch_load_b64 v[28:29], v16, off
	v_add_nc_u32_e32 v16, 8, v16
	s_waitcnt vmcnt(0)
	v_and_b32_e32 v31, 0xff, v29
	v_and_b32_e32 v32, 0xff00, v29
	v_and_b32_e32 v33, 0xff0000, v29
	v_and_b32_e32 v29, 0xff000000, v29
	v_or3_b32 v28, v28, 0, 0
	s_delay_alu instid0(VALU_DEP_4) | instskip(SKIP_1) | instid1(VALU_DEP_2)
	v_or_b32_e32 v31, v31, v32
	v_add_nc_u32_e32 v32, -8, v30
	v_or3_b32 v29, v31, v33, v29
.LBB4_79:                               ;   in Loop: Header=BB4_31 Depth=1
	s_or_b32 exec_lo, exec_lo, s0
	s_delay_alu instid0(SALU_CYCLE_1) | instskip(NEXT) | instid1(VALU_DEP_1)
	s_mov_b32 s0, exec_lo
	v_cmpx_gt_u32_e32 8, v32
	s_xor_b32 s4, exec_lo, s0
	s_cbranch_execz .LBB4_85
; %bb.80:                               ;   in Loop: Header=BB4_31 Depth=1
	v_mov_b32_e32 v30, 0
	v_mov_b32_e32 v31, 0
	s_mov_b32 s5, exec_lo
	v_cmpx_ne_u32_e32 0, v32
	s_cbranch_execz .LBB4_84
; %bb.81:                               ;   in Loop: Header=BB4_31 Depth=1
	v_mov_b32_e32 v30, 0
	v_mov_b32_e32 v31, 0
	s_mov_b64 s[0:1], 0
	s_mov_b32 s6, 0
	.p2align	6
.LBB4_82:                               ;   Parent Loop BB4_31 Depth=1
                                        ; =>  This Inner Loop Header: Depth=2
	scratch_load_u8 v33, v16, off
	v_mov_b32_e32 v34, s11
	v_add_nc_u32_e32 v32, -1, v32
	v_add_nc_u32_e32 v16, 1, v16
	s_delay_alu instid0(VALU_DEP_2) | instskip(SKIP_2) | instid1(VALU_DEP_1)
	v_cmp_eq_u32_e32 vcc_lo, 0, v32
	s_waitcnt vmcnt(0)
	v_and_b32_e32 v33, 0xffff, v33
	v_lshlrev_b64 v[33:34], s0, v[33:34]
	s_add_u32 s0, s0, 8
	s_addc_u32 s1, s1, 0
	s_or_b32 s6, vcc_lo, s6
	s_delay_alu instid0(VALU_DEP_1) | instskip(NEXT) | instid1(VALU_DEP_2)
	v_or_b32_e32 v31, v34, v31
	v_or_b32_e32 v30, v33, v30
	s_and_not1_b32 exec_lo, exec_lo, s6
	s_cbranch_execnz .LBB4_82
; %bb.83:                               ;   in Loop: Header=BB4_31 Depth=1
	s_or_b32 exec_lo, exec_lo, s6
.LBB4_84:                               ;   in Loop: Header=BB4_31 Depth=1
	s_delay_alu instid0(SALU_CYCLE_1)
	s_or_b32 exec_lo, exec_lo, s5
                                        ; implicit-def: $vgpr16
.LBB4_85:                               ;   in Loop: Header=BB4_31 Depth=1
	s_and_not1_saveexec_b32 s0, s4
	s_cbranch_execz .LBB4_87
; %bb.86:                               ;   in Loop: Header=BB4_31 Depth=1
	scratch_load_b64 v[30:31], v16, off
	s_waitcnt vmcnt(0)
	v_and_b32_e32 v16, 0xff, v31
	v_and_b32_e32 v32, 0xff00, v31
	;; [unrolled: 1-line block ×4, first 2 shown]
	v_or3_b32 v30, v30, 0, 0
	s_delay_alu instid0(VALU_DEP_4) | instskip(NEXT) | instid1(VALU_DEP_1)
	v_or_b32_e32 v16, v16, v32
	v_or3_b32 v31, v16, v33, v31
.LBB4_87:                               ;   in Loop: Header=BB4_31 Depth=1
	s_or_b32 exec_lo, exec_lo, s0
	v_readfirstlane_b32 s0, v48
	v_mov_b32_e32 v36, 0
	v_mov_b32_e32 v37, 0
	s_delay_alu instid0(VALU_DEP_3) | instskip(NEXT) | instid1(VALU_DEP_1)
	v_cmp_eq_u32_e64 s0, s0, v48
	s_and_saveexec_b32 s1, s0
	s_cbranch_execz .LBB4_93
; %bb.88:                               ;   in Loop: Header=BB4_31 Depth=1
	global_load_b64 v[34:35], v17, s[2:3] offset:24 glc
	s_waitcnt vmcnt(0)
	buffer_gl1_inv
	buffer_gl0_inv
	s_clause 0x1
	global_load_b64 v[32:33], v17, s[2:3] offset:40
	global_load_b64 v[36:37], v17, s[2:3]
	s_mov_b32 s4, exec_lo
	s_waitcnt vmcnt(1)
	v_and_b32_e32 v16, v33, v35
	v_and_b32_e32 v32, v32, v34
	s_delay_alu instid0(VALU_DEP_2) | instskip(NEXT) | instid1(VALU_DEP_2)
	v_mul_lo_u32 v16, v16, 24
	v_mul_hi_u32 v33, v32, 24
	v_mul_lo_u32 v32, v32, 24
	s_delay_alu instid0(VALU_DEP_2) | instskip(SKIP_1) | instid1(VALU_DEP_2)
	v_add_nc_u32_e32 v16, v33, v16
	s_waitcnt vmcnt(0)
	v_add_co_u32 v32, vcc_lo, v36, v32
	s_delay_alu instid0(VALU_DEP_2)
	v_add_co_ci_u32_e32 v33, vcc_lo, v37, v16, vcc_lo
	global_load_b64 v[32:33], v[32:33], off glc
	s_waitcnt vmcnt(0)
	global_atomic_cmpswap_b64 v[36:37], v17, v[32:35], s[2:3] offset:24 glc
	s_waitcnt vmcnt(0)
	buffer_gl1_inv
	buffer_gl0_inv
	v_cmpx_ne_u64_e64 v[36:37], v[34:35]
	s_cbranch_execz .LBB4_92
; %bb.89:                               ;   in Loop: Header=BB4_31 Depth=1
	s_mov_b32 s5, 0
	.p2align	6
.LBB4_90:                               ;   Parent Loop BB4_31 Depth=1
                                        ; =>  This Inner Loop Header: Depth=2
	s_sleep 1
	s_clause 0x1
	global_load_b64 v[32:33], v17, s[2:3] offset:40
	global_load_b64 v[49:50], v17, s[2:3]
	v_dual_mov_b32 v34, v36 :: v_dual_mov_b32 v35, v37
	s_waitcnt vmcnt(1)
	s_delay_alu instid0(VALU_DEP_1) | instskip(SKIP_1) | instid1(VALU_DEP_1)
	v_and_b32_e32 v16, v32, v34
	s_waitcnt vmcnt(0)
	v_mad_u64_u32 v[36:37], null, v16, 24, v[49:50]
	v_and_b32_e32 v49, v33, v35
	s_delay_alu instid0(VALU_DEP_2) | instskip(NEXT) | instid1(VALU_DEP_1)
	v_mov_b32_e32 v16, v37
	v_mad_u64_u32 v[32:33], null, v49, 24, v[16:17]
	s_delay_alu instid0(VALU_DEP_1)
	v_mov_b32_e32 v37, v32
	global_load_b64 v[32:33], v[36:37], off glc
	s_waitcnt vmcnt(0)
	global_atomic_cmpswap_b64 v[36:37], v17, v[32:35], s[2:3] offset:24 glc
	s_waitcnt vmcnt(0)
	buffer_gl1_inv
	buffer_gl0_inv
	v_cmp_eq_u64_e32 vcc_lo, v[36:37], v[34:35]
	s_or_b32 s5, vcc_lo, s5
	s_delay_alu instid0(SALU_CYCLE_1)
	s_and_not1_b32 exec_lo, exec_lo, s5
	s_cbranch_execnz .LBB4_90
; %bb.91:                               ;   in Loop: Header=BB4_31 Depth=1
	s_or_b32 exec_lo, exec_lo, s5
.LBB4_92:                               ;   in Loop: Header=BB4_31 Depth=1
	s_delay_alu instid0(SALU_CYCLE_1)
	s_or_b32 exec_lo, exec_lo, s4
.LBB4_93:                               ;   in Loop: Header=BB4_31 Depth=1
	s_delay_alu instid0(SALU_CYCLE_1)
	s_or_b32 exec_lo, exec_lo, s1
	s_clause 0x1
	global_load_b64 v[49:50], v17, s[2:3] offset:40
	global_load_b128 v[32:35], v17, s[2:3]
	v_readfirstlane_b32 s4, v36
	v_readfirstlane_b32 s5, v37
	s_mov_b32 s1, exec_lo
	s_waitcnt vmcnt(1)
	v_readfirstlane_b32 s6, v49
	v_readfirstlane_b32 s7, v50
	s_delay_alu instid0(VALU_DEP_1) | instskip(NEXT) | instid1(SALU_CYCLE_1)
	s_and_b64 s[6:7], s[4:5], s[6:7]
	s_mul_i32 s12, s7, 24
	s_mul_hi_u32 s13, s6, 24
	s_mul_i32 s14, s6, 24
	s_add_i32 s13, s13, s12
	s_waitcnt vmcnt(0)
	v_add_co_u32 v36, vcc_lo, v32, s14
	v_add_co_ci_u32_e32 v37, vcc_lo, s13, v33, vcc_lo
	s_and_saveexec_b32 s12, s0
	s_cbranch_execz .LBB4_95
; %bb.94:                               ;   in Loop: Header=BB4_31 Depth=1
	v_mov_b32_e32 v16, s1
	global_store_b128 v[36:37], v[16:19], off offset:8
.LBB4_95:                               ;   in Loop: Header=BB4_31 Depth=1
	s_or_b32 exec_lo, exec_lo, s12
	v_cmp_lt_u64_e32 vcc_lo, 56, v[0:1]
	v_or_b32_e32 v16, 0, v11
	v_or_b32_e32 v49, v10, v5
	v_lshl_add_u32 v50, v3, 2, 28
	s_lshl_b64 s[6:7], s[6:7], 12
	s_delay_alu instid0(SALU_CYCLE_1) | instskip(NEXT) | instid1(VALU_DEP_1)
	v_add_co_u32 v34, s1, v34, s6
	v_add_co_ci_u32_e64 v35, s1, s7, v35, s1
	v_dual_cndmask_b32 v11, v16, v11 :: v_dual_cndmask_b32 v10, v49, v10
	v_and_b32_e32 v16, 0x1e0, v50
	s_delay_alu instid0(VALU_DEP_4) | instskip(NEXT) | instid1(VALU_DEP_4)
	v_readfirstlane_b32 s6, v34
	v_readfirstlane_b32 s7, v35
	s_delay_alu instid0(VALU_DEP_3)
	v_and_or_b32 v10, 0xffffff1f, v10, v16
	s_clause 0x3
	global_store_b128 v39, v[10:13], s[6:7]
	global_store_b128 v39, v[20:23], s[6:7] offset:16
	global_store_b128 v39, v[24:27], s[6:7] offset:32
	;; [unrolled: 1-line block ×3, first 2 shown]
	s_and_saveexec_b32 s1, s0
	s_cbranch_execz .LBB4_103
; %bb.96:                               ;   in Loop: Header=BB4_31 Depth=1
	s_clause 0x1
	global_load_b64 v[24:25], v17, s[2:3] offset:32 glc
	global_load_b64 v[10:11], v17, s[2:3] offset:40
	v_dual_mov_b32 v22, s4 :: v_dual_mov_b32 v23, s5
	s_waitcnt vmcnt(0)
	v_readfirstlane_b32 s6, v10
	v_readfirstlane_b32 s7, v11
	s_delay_alu instid0(VALU_DEP_1) | instskip(NEXT) | instid1(SALU_CYCLE_1)
	s_and_b64 s[6:7], s[6:7], s[4:5]
	s_mul_i32 s7, s7, 24
	s_mul_hi_u32 s12, s6, 24
	s_mul_i32 s6, s6, 24
	s_add_i32 s12, s12, s7
	v_add_co_u32 v20, vcc_lo, v32, s6
	v_add_co_ci_u32_e32 v21, vcc_lo, s12, v33, vcc_lo
	s_mov_b32 s6, exec_lo
	global_store_b64 v[20:21], v[24:25], off
	s_waitcnt_vscnt null, 0x0
	global_atomic_cmpswap_b64 v[12:13], v17, v[22:25], s[2:3] offset:32 glc
	s_waitcnt vmcnt(0)
	v_cmpx_ne_u64_e64 v[12:13], v[24:25]
	s_cbranch_execz .LBB4_99
; %bb.97:                               ;   in Loop: Header=BB4_31 Depth=1
	s_mov_b32 s7, 0
.LBB4_98:                               ;   Parent Loop BB4_31 Depth=1
                                        ; =>  This Inner Loop Header: Depth=2
	v_dual_mov_b32 v10, s4 :: v_dual_mov_b32 v11, s5
	s_sleep 1
	global_store_b64 v[20:21], v[12:13], off
	s_waitcnt_vscnt null, 0x0
	global_atomic_cmpswap_b64 v[10:11], v17, v[10:13], s[2:3] offset:32 glc
	s_waitcnt vmcnt(0)
	v_cmp_eq_u64_e32 vcc_lo, v[10:11], v[12:13]
	v_dual_mov_b32 v13, v11 :: v_dual_mov_b32 v12, v10
	s_or_b32 s7, vcc_lo, s7
	s_delay_alu instid0(SALU_CYCLE_1)
	s_and_not1_b32 exec_lo, exec_lo, s7
	s_cbranch_execnz .LBB4_98
.LBB4_99:                               ;   in Loop: Header=BB4_31 Depth=1
	s_or_b32 exec_lo, exec_lo, s6
	global_load_b64 v[10:11], v17, s[2:3] offset:16
	s_mov_b32 s7, exec_lo
	s_mov_b32 s6, exec_lo
	v_mbcnt_lo_u32_b32 v12, s7, 0
	s_delay_alu instid0(VALU_DEP_1)
	v_cmpx_eq_u32_e32 0, v12
	s_cbranch_execz .LBB4_101
; %bb.100:                              ;   in Loop: Header=BB4_31 Depth=1
	s_bcnt1_i32_b32 s7, s7
	s_delay_alu instid0(SALU_CYCLE_1)
	v_mov_b32_e32 v16, s7
	s_waitcnt vmcnt(0)
	global_atomic_add_u64 v[10:11], v[16:17], off offset:8
.LBB4_101:                              ;   in Loop: Header=BB4_31 Depth=1
	s_or_b32 exec_lo, exec_lo, s6
	s_waitcnt vmcnt(0)
	global_load_b64 v[12:13], v[10:11], off offset:16
	s_waitcnt vmcnt(0)
	v_cmp_eq_u64_e32 vcc_lo, 0, v[12:13]
	s_cbranch_vccnz .LBB4_103
; %bb.102:                              ;   in Loop: Header=BB4_31 Depth=1
	global_load_b32 v16, v[10:11], off offset:24
	s_waitcnt vmcnt(0)
	v_and_b32_e32 v10, 0xffffff, v16
	s_waitcnt_vscnt null, 0x0
	global_store_b64 v[12:13], v[16:17], off
	v_readfirstlane_b32 m0, v10
	s_sendmsg sendmsg(MSG_INTERRUPT)
.LBB4_103:                              ;   in Loop: Header=BB4_31 Depth=1
	s_or_b32 exec_lo, exec_lo, s1
	v_add_co_u32 v10, vcc_lo, v34, v39
	v_add_co_ci_u32_e32 v11, vcc_lo, 0, v35, vcc_lo
	s_branch .LBB4_107
	.p2align	6
.LBB4_104:                              ;   in Loop: Header=BB4_107 Depth=2
	s_or_b32 exec_lo, exec_lo, s1
	s_delay_alu instid0(VALU_DEP_1) | instskip(NEXT) | instid1(VALU_DEP_1)
	v_readfirstlane_b32 s1, v12
	s_cmp_eq_u32 s1, 0
	s_cbranch_scc1 .LBB4_106
; %bb.105:                              ;   in Loop: Header=BB4_107 Depth=2
	s_sleep 1
	s_cbranch_execnz .LBB4_107
	s_branch .LBB4_109
	.p2align	6
.LBB4_106:                              ;   in Loop: Header=BB4_31 Depth=1
	s_branch .LBB4_109
.LBB4_107:                              ;   Parent Loop BB4_31 Depth=1
                                        ; =>  This Inner Loop Header: Depth=2
	v_mov_b32_e32 v12, 1
	s_and_saveexec_b32 s1, s0
	s_cbranch_execz .LBB4_104
; %bb.108:                              ;   in Loop: Header=BB4_107 Depth=2
	global_load_b32 v12, v[36:37], off offset:20 glc
	s_waitcnt vmcnt(0)
	buffer_gl1_inv
	buffer_gl0_inv
	v_and_b32_e32 v12, 1, v12
	s_branch .LBB4_104
.LBB4_109:                              ;   in Loop: Header=BB4_31 Depth=1
	global_load_b128 v[10:13], v[10:11], off
	s_and_saveexec_b32 s1, s0
	s_cbranch_execz .LBB4_30
; %bb.110:                              ;   in Loop: Header=BB4_31 Depth=1
	s_clause 0x2
	global_load_b64 v[12:13], v17, s[2:3] offset:40
	global_load_b64 v[24:25], v17, s[2:3] offset:24 glc
	global_load_b64 v[22:23], v17, s[2:3]
	s_waitcnt vmcnt(2)
	v_add_co_u32 v16, vcc_lo, v12, 1
	v_add_co_ci_u32_e32 v26, vcc_lo, 0, v13, vcc_lo
	s_delay_alu instid0(VALU_DEP_2) | instskip(NEXT) | instid1(VALU_DEP_2)
	v_add_co_u32 v20, vcc_lo, v16, s4
	v_add_co_ci_u32_e32 v21, vcc_lo, s5, v26, vcc_lo
	s_delay_alu instid0(VALU_DEP_1) | instskip(SKIP_1) | instid1(VALU_DEP_1)
	v_cmp_eq_u64_e32 vcc_lo, 0, v[20:21]
	v_dual_cndmask_b32 v21, v21, v26 :: v_dual_cndmask_b32 v20, v20, v16
	v_and_b32_e32 v13, v21, v13
	s_delay_alu instid0(VALU_DEP_2) | instskip(NEXT) | instid1(VALU_DEP_1)
	v_and_b32_e32 v12, v20, v12
	v_mul_hi_u32 v16, v12, 24
	v_mul_lo_u32 v12, v12, 24
	s_waitcnt vmcnt(0)
	s_delay_alu instid0(VALU_DEP_1) | instskip(SKIP_2) | instid1(VALU_DEP_1)
	v_add_co_u32 v12, vcc_lo, v22, v12
	v_mov_b32_e32 v22, v24
	v_mul_lo_u32 v13, v13, 24
	v_add_nc_u32_e32 v13, v16, v13
	s_delay_alu instid0(VALU_DEP_1)
	v_add_co_ci_u32_e32 v13, vcc_lo, v23, v13, vcc_lo
	v_mov_b32_e32 v23, v25
	global_store_b64 v[12:13], v[24:25], off
	s_waitcnt_vscnt null, 0x0
	global_atomic_cmpswap_b64 v[22:23], v17, v[20:23], s[2:3] offset:24 glc
	s_waitcnt vmcnt(0)
	v_cmp_ne_u64_e32 vcc_lo, v[22:23], v[24:25]
	s_and_b32 exec_lo, exec_lo, vcc_lo
	s_cbranch_execz .LBB4_30
; %bb.111:                              ;   in Loop: Header=BB4_31 Depth=1
	s_mov_b32 s0, 0
.LBB4_112:                              ;   Parent Loop BB4_31 Depth=1
                                        ; =>  This Inner Loop Header: Depth=2
	s_sleep 1
	global_store_b64 v[12:13], v[22:23], off
	s_waitcnt_vscnt null, 0x0
	global_atomic_cmpswap_b64 v[24:25], v17, v[20:23], s[2:3] offset:24 glc
	s_waitcnt vmcnt(0)
	v_cmp_eq_u64_e32 vcc_lo, v[24:25], v[22:23]
	v_dual_mov_b32 v22, v24 :: v_dual_mov_b32 v23, v25
	s_or_b32 s0, vcc_lo, s0
	s_delay_alu instid0(SALU_CYCLE_1)
	s_and_not1_b32 exec_lo, exec_lo, s0
	s_cbranch_execnz .LBB4_112
	s_branch .LBB4_30
.LBB4_113:
                                        ; implicit-def: $vgpr10_vgpr11
	s_cbranch_execnz .LBB4_115
	s_branch .LBB4_142
.LBB4_114:
	s_or_b32 exec_lo, exec_lo, s10
	s_branch .LBB4_142
.LBB4_115:
	v_readfirstlane_b32 s0, v48
	v_mov_b32_e32 v0, 0
	v_mov_b32_e32 v1, 0
	s_delay_alu instid0(VALU_DEP_3) | instskip(NEXT) | instid1(VALU_DEP_1)
	v_cmp_eq_u32_e64 s0, s0, v48
	s_and_saveexec_b32 s1, s0
	s_cbranch_execz .LBB4_121
; %bb.116:
	v_mov_b32_e32 v3, 0
	s_mov_b32 s4, exec_lo
	global_load_b64 v[12:13], v3, s[2:3] offset:24 glc
	s_waitcnt vmcnt(0)
	buffer_gl1_inv
	buffer_gl0_inv
	s_clause 0x1
	global_load_b64 v[0:1], v3, s[2:3] offset:40
	global_load_b64 v[4:5], v3, s[2:3]
	s_waitcnt vmcnt(1)
	v_and_b32_e32 v0, v0, v12
	v_and_b32_e32 v1, v1, v13
	s_delay_alu instid0(VALU_DEP_2) | instskip(NEXT) | instid1(VALU_DEP_2)
	v_mul_hi_u32 v10, v0, 24
	v_mul_lo_u32 v1, v1, 24
	v_mul_lo_u32 v0, v0, 24
	s_delay_alu instid0(VALU_DEP_2) | instskip(SKIP_1) | instid1(VALU_DEP_2)
	v_add_nc_u32_e32 v1, v10, v1
	s_waitcnt vmcnt(0)
	v_add_co_u32 v0, vcc_lo, v4, v0
	s_delay_alu instid0(VALU_DEP_2)
	v_add_co_ci_u32_e32 v1, vcc_lo, v5, v1, vcc_lo
	global_load_b64 v[10:11], v[0:1], off glc
	s_waitcnt vmcnt(0)
	global_atomic_cmpswap_b64 v[0:1], v3, v[10:13], s[2:3] offset:24 glc
	s_waitcnt vmcnt(0)
	buffer_gl1_inv
	buffer_gl0_inv
	v_cmpx_ne_u64_e64 v[0:1], v[12:13]
	s_cbranch_execz .LBB4_120
; %bb.117:
	s_mov_b32 s5, 0
	.p2align	6
.LBB4_118:                              ; =>This Inner Loop Header: Depth=1
	s_sleep 1
	s_clause 0x1
	global_load_b64 v[4:5], v3, s[2:3] offset:40
	global_load_b64 v[10:11], v3, s[2:3]
	v_dual_mov_b32 v13, v1 :: v_dual_mov_b32 v12, v0
	s_waitcnt vmcnt(1)
	s_delay_alu instid0(VALU_DEP_1) | instskip(SKIP_1) | instid1(VALU_DEP_1)
	v_and_b32_e32 v4, v4, v12
	s_waitcnt vmcnt(0)
	v_mad_u64_u32 v[0:1], null, v4, 24, v[10:11]
	v_and_b32_e32 v10, v5, v13
	s_delay_alu instid0(VALU_DEP_1) | instskip(NEXT) | instid1(VALU_DEP_1)
	v_mad_u64_u32 v[4:5], null, v10, 24, v[1:2]
	v_mov_b32_e32 v1, v4
	global_load_b64 v[10:11], v[0:1], off glc
	s_waitcnt vmcnt(0)
	global_atomic_cmpswap_b64 v[0:1], v3, v[10:13], s[2:3] offset:24 glc
	s_waitcnt vmcnt(0)
	buffer_gl1_inv
	buffer_gl0_inv
	v_cmp_eq_u64_e32 vcc_lo, v[0:1], v[12:13]
	s_or_b32 s5, vcc_lo, s5
	s_delay_alu instid0(SALU_CYCLE_1)
	s_and_not1_b32 exec_lo, exec_lo, s5
	s_cbranch_execnz .LBB4_118
; %bb.119:
	s_or_b32 exec_lo, exec_lo, s5
.LBB4_120:
	s_delay_alu instid0(SALU_CYCLE_1)
	s_or_b32 exec_lo, exec_lo, s4
.LBB4_121:
	s_delay_alu instid0(SALU_CYCLE_1)
	s_or_b32 exec_lo, exec_lo, s1
	v_mov_b32_e32 v16, 0
	v_readfirstlane_b32 s4, v0
	v_readfirstlane_b32 s5, v1
	s_mov_b32 s1, exec_lo
	s_clause 0x1
	global_load_b64 v[3:4], v16, s[2:3] offset:40
	global_load_b128 v[10:13], v16, s[2:3]
	s_waitcnt vmcnt(1)
	v_readfirstlane_b32 s6, v3
	v_readfirstlane_b32 s7, v4
	s_delay_alu instid0(VALU_DEP_1) | instskip(NEXT) | instid1(SALU_CYCLE_1)
	s_and_b64 s[6:7], s[4:5], s[6:7]
	s_mul_i32 s10, s7, 24
	s_mul_hi_u32 s11, s6, 24
	s_mul_i32 s12, s6, 24
	s_add_i32 s11, s11, s10
	s_waitcnt vmcnt(0)
	v_add_co_u32 v0, vcc_lo, v10, s12
	v_add_co_ci_u32_e32 v1, vcc_lo, s11, v11, vcc_lo
	s_and_saveexec_b32 s10, s0
	s_cbranch_execz .LBB4_123
; %bb.122:
	v_dual_mov_b32 v17, s1 :: v_dual_mov_b32 v18, v16
	v_dual_mov_b32 v19, 2 :: v_dual_mov_b32 v20, 1
	global_store_b128 v[0:1], v[17:20], off offset:8
.LBB4_123:
	s_or_b32 exec_lo, exec_lo, s10
	s_lshl_b64 s[6:7], s[6:7], 12
	s_mov_b32 s12, 0
	v_add_co_u32 v3, vcc_lo, v12, s6
	v_add_co_ci_u32_e32 v4, vcc_lo, s7, v13, vcc_lo
	s_mov_b32 s15, s12
	s_delay_alu instid0(VALU_DEP_2)
	v_readfirstlane_b32 s6, v3
	v_add_co_u32 v3, vcc_lo, v3, v39
	s_mov_b32 s13, s12
	s_mov_b32 s14, s12
	v_and_or_b32 v14, 0xffffff1f, v14, 32
	v_mov_b32_e32 v17, v16
	v_readfirstlane_b32 s7, v4
	v_dual_mov_b32 v21, s15 :: v_dual_mov_b32 v18, s12
	v_add_co_ci_u32_e32 v4, vcc_lo, 0, v4, vcc_lo
	v_dual_mov_b32 v20, s14 :: v_dual_mov_b32 v19, s13
	s_clause 0x3
	global_store_b128 v39, v[14:17], s[6:7]
	global_store_b128 v39, v[18:21], s[6:7] offset:16
	global_store_b128 v39, v[18:21], s[6:7] offset:32
	global_store_b128 v39, v[18:21], s[6:7] offset:48
	s_and_saveexec_b32 s1, s0
	s_cbranch_execz .LBB4_131
; %bb.124:
	v_dual_mov_b32 v5, 0 :: v_dual_mov_b32 v16, s4
	v_mov_b32_e32 v17, s5
	s_clause 0x1
	global_load_b64 v[18:19], v5, s[2:3] offset:32 glc
	global_load_b64 v[12:13], v5, s[2:3] offset:40
	s_waitcnt vmcnt(0)
	v_readfirstlane_b32 s6, v12
	v_readfirstlane_b32 s7, v13
	s_delay_alu instid0(VALU_DEP_1) | instskip(NEXT) | instid1(SALU_CYCLE_1)
	s_and_b64 s[6:7], s[6:7], s[4:5]
	s_mul_i32 s7, s7, 24
	s_mul_hi_u32 s10, s6, 24
	s_mul_i32 s6, s6, 24
	s_add_i32 s10, s10, s7
	v_add_co_u32 v14, vcc_lo, v10, s6
	v_add_co_ci_u32_e32 v15, vcc_lo, s10, v11, vcc_lo
	s_mov_b32 s6, exec_lo
	global_store_b64 v[14:15], v[18:19], off
	s_waitcnt_vscnt null, 0x0
	global_atomic_cmpswap_b64 v[12:13], v5, v[16:19], s[2:3] offset:32 glc
	s_waitcnt vmcnt(0)
	v_cmpx_ne_u64_e64 v[12:13], v[18:19]
	s_cbranch_execz .LBB4_127
; %bb.125:
	s_mov_b32 s7, 0
.LBB4_126:                              ; =>This Inner Loop Header: Depth=1
	v_dual_mov_b32 v10, s4 :: v_dual_mov_b32 v11, s5
	s_sleep 1
	global_store_b64 v[14:15], v[12:13], off
	s_waitcnt_vscnt null, 0x0
	global_atomic_cmpswap_b64 v[10:11], v5, v[10:13], s[2:3] offset:32 glc
	s_waitcnt vmcnt(0)
	v_cmp_eq_u64_e32 vcc_lo, v[10:11], v[12:13]
	v_dual_mov_b32 v13, v11 :: v_dual_mov_b32 v12, v10
	s_or_b32 s7, vcc_lo, s7
	s_delay_alu instid0(SALU_CYCLE_1)
	s_and_not1_b32 exec_lo, exec_lo, s7
	s_cbranch_execnz .LBB4_126
.LBB4_127:
	s_or_b32 exec_lo, exec_lo, s6
	v_mov_b32_e32 v13, 0
	s_mov_b32 s7, exec_lo
	s_mov_b32 s6, exec_lo
	v_mbcnt_lo_u32_b32 v5, s7, 0
	global_load_b64 v[10:11], v13, s[2:3] offset:16
	v_cmpx_eq_u32_e32 0, v5
	s_cbranch_execz .LBB4_129
; %bb.128:
	s_bcnt1_i32_b32 s7, s7
	s_delay_alu instid0(SALU_CYCLE_1)
	v_mov_b32_e32 v12, s7
	s_waitcnt vmcnt(0)
	global_atomic_add_u64 v[10:11], v[12:13], off offset:8
.LBB4_129:
	s_or_b32 exec_lo, exec_lo, s6
	s_waitcnt vmcnt(0)
	global_load_b64 v[12:13], v[10:11], off offset:16
	s_waitcnt vmcnt(0)
	v_cmp_eq_u64_e32 vcc_lo, 0, v[12:13]
	s_cbranch_vccnz .LBB4_131
; %bb.130:
	global_load_b32 v10, v[10:11], off offset:24
	v_mov_b32_e32 v11, 0
	s_waitcnt vmcnt(0)
	v_and_b32_e32 v5, 0xffffff, v10
	s_waitcnt_vscnt null, 0x0
	global_store_b64 v[12:13], v[10:11], off
	v_readfirstlane_b32 m0, v5
	s_sendmsg sendmsg(MSG_INTERRUPT)
.LBB4_131:
	s_or_b32 exec_lo, exec_lo, s1
	s_branch .LBB4_135
	.p2align	6
.LBB4_132:                              ;   in Loop: Header=BB4_135 Depth=1
	s_or_b32 exec_lo, exec_lo, s1
	s_delay_alu instid0(VALU_DEP_1) | instskip(NEXT) | instid1(VALU_DEP_1)
	v_readfirstlane_b32 s1, v5
	s_cmp_eq_u32 s1, 0
	s_cbranch_scc1 .LBB4_134
; %bb.133:                              ;   in Loop: Header=BB4_135 Depth=1
	s_sleep 1
	s_cbranch_execnz .LBB4_135
	s_branch .LBB4_137
	.p2align	6
.LBB4_134:
	s_branch .LBB4_137
.LBB4_135:                              ; =>This Inner Loop Header: Depth=1
	v_mov_b32_e32 v5, 1
	s_and_saveexec_b32 s1, s0
	s_cbranch_execz .LBB4_132
; %bb.136:                              ;   in Loop: Header=BB4_135 Depth=1
	global_load_b32 v5, v[0:1], off offset:20 glc
	s_waitcnt vmcnt(0)
	buffer_gl1_inv
	buffer_gl0_inv
	v_and_b32_e32 v5, 1, v5
	s_branch .LBB4_132
.LBB4_137:
	global_load_b64 v[10:11], v[3:4], off
	s_and_saveexec_b32 s1, s0
	s_cbranch_execz .LBB4_141
; %bb.138:
	v_mov_b32_e32 v3, 0
	s_clause 0x2
	global_load_b64 v[0:1], v3, s[2:3] offset:40
	global_load_b64 v[4:5], v3, s[2:3] offset:24 glc
	global_load_b64 v[14:15], v3, s[2:3]
	s_waitcnt vmcnt(2)
	v_add_co_u32 v16, vcc_lo, v0, 1
	v_add_co_ci_u32_e32 v17, vcc_lo, 0, v1, vcc_lo
	s_delay_alu instid0(VALU_DEP_2) | instskip(NEXT) | instid1(VALU_DEP_2)
	v_add_co_u32 v12, vcc_lo, v16, s4
	v_add_co_ci_u32_e32 v13, vcc_lo, s5, v17, vcc_lo
	s_delay_alu instid0(VALU_DEP_1) | instskip(SKIP_1) | instid1(VALU_DEP_1)
	v_cmp_eq_u64_e32 vcc_lo, 0, v[12:13]
	v_dual_cndmask_b32 v12, v12, v16 :: v_dual_cndmask_b32 v13, v13, v17
	v_and_b32_e32 v0, v12, v0
	s_delay_alu instid0(VALU_DEP_2) | instskip(NEXT) | instid1(VALU_DEP_2)
	v_and_b32_e32 v1, v13, v1
	v_mul_hi_u32 v16, v0, 24
	v_mul_lo_u32 v0, v0, 24
	s_waitcnt vmcnt(0)
	s_delay_alu instid0(VALU_DEP_1) | instskip(SKIP_2) | instid1(VALU_DEP_1)
	v_add_co_u32 v0, vcc_lo, v14, v0
	v_mov_b32_e32 v14, v4
	v_mul_lo_u32 v1, v1, 24
	v_add_nc_u32_e32 v1, v16, v1
	s_delay_alu instid0(VALU_DEP_1)
	v_add_co_ci_u32_e32 v1, vcc_lo, v15, v1, vcc_lo
	v_mov_b32_e32 v15, v5
	global_store_b64 v[0:1], v[4:5], off
	s_waitcnt_vscnt null, 0x0
	global_atomic_cmpswap_b64 v[14:15], v3, v[12:15], s[2:3] offset:24 glc
	s_waitcnt vmcnt(0)
	v_cmp_ne_u64_e32 vcc_lo, v[14:15], v[4:5]
	s_and_b32 exec_lo, exec_lo, vcc_lo
	s_cbranch_execz .LBB4_141
; %bb.139:
	s_mov_b32 s0, 0
.LBB4_140:                              ; =>This Inner Loop Header: Depth=1
	s_sleep 1
	global_store_b64 v[0:1], v[14:15], off
	s_waitcnt_vscnt null, 0x0
	global_atomic_cmpswap_b64 v[4:5], v3, v[12:15], s[2:3] offset:24 glc
	s_waitcnt vmcnt(0)
	v_cmp_eq_u64_e32 vcc_lo, v[4:5], v[14:15]
	v_dual_mov_b32 v15, v5 :: v_dual_mov_b32 v14, v4
	s_or_b32 s0, vcc_lo, s0
	s_delay_alu instid0(SALU_CYCLE_1)
	s_and_not1_b32 exec_lo, exec_lo, s0
	s_cbranch_execnz .LBB4_140
.LBB4_141:
	s_or_b32 exec_lo, exec_lo, s1
.LBB4_142:
	s_getpc_b64 s[4:5]
	s_add_u32 s4, s4, .str.1@rel32@lo+4
	s_addc_u32 s5, s5, .str.1@rel32@hi+12
	s_delay_alu instid0(SALU_CYCLE_1)
	s_cmp_lg_u64 s[4:5], 0
	s_cbranch_scc0 .LBB4_220
; %bb.143:
	s_getpc_b64 s[0:1]
	s_add_u32 s0, s0, .str.1@rel32@lo+88
	s_addc_u32 s1, s1, .str.1@rel32@hi+96
	s_waitcnt vmcnt(0)
	v_dual_mov_b32 v16, 0 :: v_dual_and_b32 v5, 2, v10
	v_dual_mov_b32 v13, v11 :: v_dual_and_b32 v12, -3, v10
	v_dual_mov_b32 v17, 2 :: v_dual_mov_b32 v18, 1
	s_sub_i32 s6, s0, s4
	s_delay_alu instid0(SALU_CYCLE_1)
	s_ashr_i32 s7, s6, 31
	s_branch .LBB4_145
.LBB4_144:                              ;   in Loop: Header=BB4_145 Depth=1
	s_or_b32 exec_lo, exec_lo, s1
	s_sub_u32 s6, s6, s10
	s_subb_u32 s7, s7, s11
	s_add_u32 s4, s4, s10
	s_addc_u32 s5, s5, s11
	s_cmp_lg_u64 s[6:7], 0
	s_cbranch_scc0 .LBB4_221
.LBB4_145:                              ; =>This Loop Header: Depth=1
                                        ;     Child Loop BB4_154 Depth 2
                                        ;     Child Loop BB4_150 Depth 2
	;; [unrolled: 1-line block ×11, first 2 shown]
	v_cmp_lt_u64_e64 s0, s[6:7], 56
	v_cmp_gt_u64_e64 s1, s[6:7], 7
                                        ; implicit-def: $vgpr21_vgpr22
                                        ; implicit-def: $sgpr16
	s_delay_alu instid0(VALU_DEP_2) | instskip(SKIP_2) | instid1(VALU_DEP_1)
	s_and_b32 s0, s0, exec_lo
	s_cselect_b32 s11, s7, 0
	s_cselect_b32 s10, s6, 56
	s_and_b32 vcc_lo, exec_lo, s1
	s_mov_b32 s0, -1
	s_cbranch_vccz .LBB4_152
; %bb.146:                              ;   in Loop: Header=BB4_145 Depth=1
	s_and_not1_b32 vcc_lo, exec_lo, s0
	s_mov_b64 s[0:1], s[4:5]
	s_cbranch_vccz .LBB4_156
.LBB4_147:                              ;   in Loop: Header=BB4_145 Depth=1
	s_cmp_gt_u32 s16, 7
	s_cbranch_scc1 .LBB4_157
.LBB4_148:                              ;   in Loop: Header=BB4_145 Depth=1
	v_mov_b32_e32 v23, 0
	v_mov_b32_e32 v24, 0
	s_cmp_eq_u32 s16, 0
	s_cbranch_scc1 .LBB4_151
; %bb.149:                              ;   in Loop: Header=BB4_145 Depth=1
	s_mov_b64 s[12:13], 0
	s_mov_b64 s[14:15], 0
.LBB4_150:                              ;   Parent Loop BB4_145 Depth=1
                                        ; =>  This Inner Loop Header: Depth=2
	s_delay_alu instid0(SALU_CYCLE_1)
	s_add_u32 s18, s0, s14
	s_addc_u32 s19, s1, s15
	s_add_u32 s14, s14, 1
	global_load_u8 v0, v16, s[18:19]
	s_addc_u32 s15, s15, 0
	s_waitcnt vmcnt(0)
	v_and_b32_e32 v15, 0xffff, v0
	s_delay_alu instid0(VALU_DEP_1) | instskip(SKIP_3) | instid1(VALU_DEP_1)
	v_lshlrev_b64 v[0:1], s12, v[15:16]
	s_add_u32 s12, s12, 8
	s_addc_u32 s13, s13, 0
	s_cmp_lg_u32 s16, s14
	v_or_b32_e32 v23, v0, v23
	s_delay_alu instid0(VALU_DEP_2)
	v_or_b32_e32 v24, v1, v24
	s_cbranch_scc1 .LBB4_150
.LBB4_151:                              ;   in Loop: Header=BB4_145 Depth=1
	s_mov_b32 s17, 0
	s_cbranch_execz .LBB4_158
	s_branch .LBB4_159
.LBB4_152:                              ;   in Loop: Header=BB4_145 Depth=1
	v_mov_b32_e32 v21, 0
	v_mov_b32_e32 v22, 0
	s_cmp_eq_u64 s[6:7], 0
	s_mov_b64 s[0:1], 0
	s_cbranch_scc1 .LBB4_155
; %bb.153:                              ;   in Loop: Header=BB4_145 Depth=1
	v_mov_b32_e32 v21, 0
	v_mov_b32_e32 v22, 0
	s_lshl_b64 s[12:13], s[10:11], 3
	s_mov_b64 s[14:15], s[4:5]
.LBB4_154:                              ;   Parent Loop BB4_145 Depth=1
                                        ; =>  This Inner Loop Header: Depth=2
	global_load_u8 v0, v16, s[14:15]
	s_waitcnt vmcnt(0)
	v_and_b32_e32 v15, 0xffff, v0
	s_delay_alu instid0(VALU_DEP_1)
	v_lshlrev_b64 v[0:1], s0, v[15:16]
	s_add_u32 s0, s0, 8
	s_addc_u32 s1, s1, 0
	s_add_u32 s14, s14, 1
	s_addc_u32 s15, s15, 0
	s_cmp_lg_u32 s12, s0
	v_or_b32_e32 v21, v0, v21
	v_or_b32_e32 v22, v1, v22
	s_cbranch_scc1 .LBB4_154
.LBB4_155:                              ;   in Loop: Header=BB4_145 Depth=1
	s_mov_b32 s16, 0
	s_mov_b64 s[0:1], s[4:5]
	s_cbranch_execnz .LBB4_147
.LBB4_156:                              ;   in Loop: Header=BB4_145 Depth=1
	global_load_b64 v[21:22], v16, s[4:5]
	s_add_i32 s16, s10, -8
	s_add_u32 s0, s4, 8
	s_addc_u32 s1, s5, 0
	s_cmp_gt_u32 s16, 7
	s_cbranch_scc0 .LBB4_148
.LBB4_157:                              ;   in Loop: Header=BB4_145 Depth=1
                                        ; implicit-def: $vgpr23_vgpr24
                                        ; implicit-def: $sgpr17
.LBB4_158:                              ;   in Loop: Header=BB4_145 Depth=1
	global_load_b64 v[23:24], v16, s[0:1]
	s_add_i32 s17, s16, -8
	s_add_u32 s0, s0, 8
	s_addc_u32 s1, s1, 0
.LBB4_159:                              ;   in Loop: Header=BB4_145 Depth=1
	s_cmp_gt_u32 s17, 7
	s_cbranch_scc1 .LBB4_164
; %bb.160:                              ;   in Loop: Header=BB4_145 Depth=1
	v_mov_b32_e32 v25, 0
	v_mov_b32_e32 v26, 0
	s_cmp_eq_u32 s17, 0
	s_cbranch_scc1 .LBB4_163
; %bb.161:                              ;   in Loop: Header=BB4_145 Depth=1
	s_mov_b64 s[12:13], 0
	s_mov_b64 s[14:15], 0
.LBB4_162:                              ;   Parent Loop BB4_145 Depth=1
                                        ; =>  This Inner Loop Header: Depth=2
	s_delay_alu instid0(SALU_CYCLE_1)
	s_add_u32 s18, s0, s14
	s_addc_u32 s19, s1, s15
	s_add_u32 s14, s14, 1
	global_load_u8 v0, v16, s[18:19]
	s_addc_u32 s15, s15, 0
	s_waitcnt vmcnt(0)
	v_and_b32_e32 v15, 0xffff, v0
	s_delay_alu instid0(VALU_DEP_1) | instskip(SKIP_3) | instid1(VALU_DEP_1)
	v_lshlrev_b64 v[0:1], s12, v[15:16]
	s_add_u32 s12, s12, 8
	s_addc_u32 s13, s13, 0
	s_cmp_lg_u32 s17, s14
	v_or_b32_e32 v25, v0, v25
	s_delay_alu instid0(VALU_DEP_2)
	v_or_b32_e32 v26, v1, v26
	s_cbranch_scc1 .LBB4_162
.LBB4_163:                              ;   in Loop: Header=BB4_145 Depth=1
	s_mov_b32 s16, 0
	s_cbranch_execz .LBB4_165
	s_branch .LBB4_166
.LBB4_164:                              ;   in Loop: Header=BB4_145 Depth=1
                                        ; implicit-def: $sgpr16
.LBB4_165:                              ;   in Loop: Header=BB4_145 Depth=1
	global_load_b64 v[25:26], v16, s[0:1]
	s_add_i32 s16, s17, -8
	s_add_u32 s0, s0, 8
	s_addc_u32 s1, s1, 0
.LBB4_166:                              ;   in Loop: Header=BB4_145 Depth=1
	s_cmp_gt_u32 s16, 7
	s_cbranch_scc1 .LBB4_171
; %bb.167:                              ;   in Loop: Header=BB4_145 Depth=1
	v_mov_b32_e32 v27, 0
	v_mov_b32_e32 v28, 0
	s_cmp_eq_u32 s16, 0
	s_cbranch_scc1 .LBB4_170
; %bb.168:                              ;   in Loop: Header=BB4_145 Depth=1
	s_mov_b64 s[12:13], 0
	s_mov_b64 s[14:15], 0
.LBB4_169:                              ;   Parent Loop BB4_145 Depth=1
                                        ; =>  This Inner Loop Header: Depth=2
	s_delay_alu instid0(SALU_CYCLE_1)
	s_add_u32 s18, s0, s14
	s_addc_u32 s19, s1, s15
	s_add_u32 s14, s14, 1
	global_load_u8 v0, v16, s[18:19]
	s_addc_u32 s15, s15, 0
	s_waitcnt vmcnt(0)
	v_and_b32_e32 v15, 0xffff, v0
	s_delay_alu instid0(VALU_DEP_1) | instskip(SKIP_3) | instid1(VALU_DEP_1)
	v_lshlrev_b64 v[0:1], s12, v[15:16]
	s_add_u32 s12, s12, 8
	s_addc_u32 s13, s13, 0
	s_cmp_lg_u32 s16, s14
	v_or_b32_e32 v27, v0, v27
	s_delay_alu instid0(VALU_DEP_2)
	v_or_b32_e32 v28, v1, v28
	s_cbranch_scc1 .LBB4_169
.LBB4_170:                              ;   in Loop: Header=BB4_145 Depth=1
	s_mov_b32 s17, 0
	s_cbranch_execz .LBB4_172
	s_branch .LBB4_173
.LBB4_171:                              ;   in Loop: Header=BB4_145 Depth=1
                                        ; implicit-def: $vgpr27_vgpr28
                                        ; implicit-def: $sgpr17
.LBB4_172:                              ;   in Loop: Header=BB4_145 Depth=1
	global_load_b64 v[27:28], v16, s[0:1]
	s_add_i32 s17, s16, -8
	s_add_u32 s0, s0, 8
	s_addc_u32 s1, s1, 0
.LBB4_173:                              ;   in Loop: Header=BB4_145 Depth=1
	s_cmp_gt_u32 s17, 7
	s_cbranch_scc1 .LBB4_178
; %bb.174:                              ;   in Loop: Header=BB4_145 Depth=1
	v_mov_b32_e32 v29, 0
	v_mov_b32_e32 v30, 0
	s_cmp_eq_u32 s17, 0
	s_cbranch_scc1 .LBB4_177
; %bb.175:                              ;   in Loop: Header=BB4_145 Depth=1
	s_mov_b64 s[12:13], 0
	s_mov_b64 s[14:15], 0
.LBB4_176:                              ;   Parent Loop BB4_145 Depth=1
                                        ; =>  This Inner Loop Header: Depth=2
	s_delay_alu instid0(SALU_CYCLE_1)
	s_add_u32 s18, s0, s14
	s_addc_u32 s19, s1, s15
	s_add_u32 s14, s14, 1
	global_load_u8 v0, v16, s[18:19]
	s_addc_u32 s15, s15, 0
	s_waitcnt vmcnt(0)
	v_and_b32_e32 v15, 0xffff, v0
	s_delay_alu instid0(VALU_DEP_1) | instskip(SKIP_3) | instid1(VALU_DEP_1)
	v_lshlrev_b64 v[0:1], s12, v[15:16]
	s_add_u32 s12, s12, 8
	s_addc_u32 s13, s13, 0
	s_cmp_lg_u32 s17, s14
	v_or_b32_e32 v29, v0, v29
	s_delay_alu instid0(VALU_DEP_2)
	v_or_b32_e32 v30, v1, v30
	s_cbranch_scc1 .LBB4_176
.LBB4_177:                              ;   in Loop: Header=BB4_145 Depth=1
	s_mov_b32 s16, 0
	s_cbranch_execz .LBB4_179
	s_branch .LBB4_180
.LBB4_178:                              ;   in Loop: Header=BB4_145 Depth=1
                                        ; implicit-def: $sgpr16
.LBB4_179:                              ;   in Loop: Header=BB4_145 Depth=1
	global_load_b64 v[29:30], v16, s[0:1]
	s_add_i32 s16, s17, -8
	s_add_u32 s0, s0, 8
	s_addc_u32 s1, s1, 0
.LBB4_180:                              ;   in Loop: Header=BB4_145 Depth=1
	s_cmp_gt_u32 s16, 7
	s_cbranch_scc1 .LBB4_185
; %bb.181:                              ;   in Loop: Header=BB4_145 Depth=1
	v_mov_b32_e32 v31, 0
	v_mov_b32_e32 v32, 0
	s_cmp_eq_u32 s16, 0
	s_cbranch_scc1 .LBB4_184
; %bb.182:                              ;   in Loop: Header=BB4_145 Depth=1
	s_mov_b64 s[12:13], 0
	s_mov_b64 s[14:15], 0
.LBB4_183:                              ;   Parent Loop BB4_145 Depth=1
                                        ; =>  This Inner Loop Header: Depth=2
	s_delay_alu instid0(SALU_CYCLE_1)
	s_add_u32 s18, s0, s14
	s_addc_u32 s19, s1, s15
	s_add_u32 s14, s14, 1
	global_load_u8 v0, v16, s[18:19]
	s_addc_u32 s15, s15, 0
	s_waitcnt vmcnt(0)
	v_and_b32_e32 v15, 0xffff, v0
	s_delay_alu instid0(VALU_DEP_1) | instskip(SKIP_3) | instid1(VALU_DEP_1)
	v_lshlrev_b64 v[0:1], s12, v[15:16]
	s_add_u32 s12, s12, 8
	s_addc_u32 s13, s13, 0
	s_cmp_lg_u32 s16, s14
	v_or_b32_e32 v31, v0, v31
	s_delay_alu instid0(VALU_DEP_2)
	v_or_b32_e32 v32, v1, v32
	s_cbranch_scc1 .LBB4_183
.LBB4_184:                              ;   in Loop: Header=BB4_145 Depth=1
	s_mov_b32 s17, 0
	s_cbranch_execz .LBB4_186
	s_branch .LBB4_187
.LBB4_185:                              ;   in Loop: Header=BB4_145 Depth=1
                                        ; implicit-def: $vgpr31_vgpr32
                                        ; implicit-def: $sgpr17
.LBB4_186:                              ;   in Loop: Header=BB4_145 Depth=1
	global_load_b64 v[31:32], v16, s[0:1]
	s_add_i32 s17, s16, -8
	s_add_u32 s0, s0, 8
	s_addc_u32 s1, s1, 0
.LBB4_187:                              ;   in Loop: Header=BB4_145 Depth=1
	s_cmp_gt_u32 s17, 7
	s_cbranch_scc1 .LBB4_192
; %bb.188:                              ;   in Loop: Header=BB4_145 Depth=1
	v_mov_b32_e32 v33, 0
	v_mov_b32_e32 v34, 0
	s_cmp_eq_u32 s17, 0
	s_cbranch_scc1 .LBB4_191
; %bb.189:                              ;   in Loop: Header=BB4_145 Depth=1
	s_mov_b64 s[12:13], 0
	s_mov_b64 s[14:15], s[0:1]
.LBB4_190:                              ;   Parent Loop BB4_145 Depth=1
                                        ; =>  This Inner Loop Header: Depth=2
	global_load_u8 v0, v16, s[14:15]
	s_add_i32 s17, s17, -1
	s_waitcnt vmcnt(0)
	v_and_b32_e32 v15, 0xffff, v0
	s_delay_alu instid0(VALU_DEP_1)
	v_lshlrev_b64 v[0:1], s12, v[15:16]
	s_add_u32 s12, s12, 8
	s_addc_u32 s13, s13, 0
	s_add_u32 s14, s14, 1
	s_addc_u32 s15, s15, 0
	s_cmp_lg_u32 s17, 0
	v_or_b32_e32 v33, v0, v33
	v_or_b32_e32 v34, v1, v34
	s_cbranch_scc1 .LBB4_190
.LBB4_191:                              ;   in Loop: Header=BB4_145 Depth=1
	s_cbranch_execz .LBB4_193
	s_branch .LBB4_194
.LBB4_192:                              ;   in Loop: Header=BB4_145 Depth=1
.LBB4_193:                              ;   in Loop: Header=BB4_145 Depth=1
	global_load_b64 v[33:34], v16, s[0:1]
.LBB4_194:                              ;   in Loop: Header=BB4_145 Depth=1
	v_readfirstlane_b32 s0, v48
	v_mov_b32_e32 v0, 0
	v_mov_b32_e32 v1, 0
	s_delay_alu instid0(VALU_DEP_3) | instskip(NEXT) | instid1(VALU_DEP_1)
	v_cmp_eq_u32_e64 s0, s0, v48
	s_and_saveexec_b32 s1, s0
	s_cbranch_execz .LBB4_200
; %bb.195:                              ;   in Loop: Header=BB4_145 Depth=1
	global_load_b64 v[37:38], v16, s[2:3] offset:24 glc
	s_waitcnt vmcnt(0)
	buffer_gl1_inv
	buffer_gl0_inv
	s_clause 0x1
	global_load_b64 v[0:1], v16, s[2:3] offset:40
	global_load_b64 v[3:4], v16, s[2:3]
	s_mov_b32 s12, exec_lo
	s_waitcnt vmcnt(1)
	v_and_b32_e32 v1, v1, v38
	v_and_b32_e32 v0, v0, v37
	s_delay_alu instid0(VALU_DEP_2) | instskip(NEXT) | instid1(VALU_DEP_2)
	v_mul_lo_u32 v1, v1, 24
	v_mul_hi_u32 v14, v0, 24
	v_mul_lo_u32 v0, v0, 24
	s_delay_alu instid0(VALU_DEP_2) | instskip(SKIP_1) | instid1(VALU_DEP_2)
	v_add_nc_u32_e32 v1, v14, v1
	s_waitcnt vmcnt(0)
	v_add_co_u32 v0, vcc_lo, v3, v0
	s_delay_alu instid0(VALU_DEP_2)
	v_add_co_ci_u32_e32 v1, vcc_lo, v4, v1, vcc_lo
	global_load_b64 v[35:36], v[0:1], off glc
	s_waitcnt vmcnt(0)
	global_atomic_cmpswap_b64 v[0:1], v16, v[35:38], s[2:3] offset:24 glc
	s_waitcnt vmcnt(0)
	buffer_gl1_inv
	buffer_gl0_inv
	v_cmpx_ne_u64_e64 v[0:1], v[37:38]
	s_cbranch_execz .LBB4_199
; %bb.196:                              ;   in Loop: Header=BB4_145 Depth=1
	s_mov_b32 s13, 0
	.p2align	6
.LBB4_197:                              ;   Parent Loop BB4_145 Depth=1
                                        ; =>  This Inner Loop Header: Depth=2
	s_sleep 1
	s_clause 0x1
	global_load_b64 v[3:4], v16, s[2:3] offset:40
	global_load_b64 v[14:15], v16, s[2:3]
	v_dual_mov_b32 v38, v1 :: v_dual_mov_b32 v37, v0
	s_waitcnt vmcnt(1)
	s_delay_alu instid0(VALU_DEP_1) | instskip(SKIP_1) | instid1(VALU_DEP_1)
	v_and_b32_e32 v3, v3, v37
	s_waitcnt vmcnt(0)
	v_mad_u64_u32 v[0:1], null, v3, 24, v[14:15]
	v_and_b32_e32 v14, v4, v38
	s_delay_alu instid0(VALU_DEP_1) | instskip(NEXT) | instid1(VALU_DEP_1)
	v_mad_u64_u32 v[3:4], null, v14, 24, v[1:2]
	v_mov_b32_e32 v1, v3
	global_load_b64 v[35:36], v[0:1], off glc
	s_waitcnt vmcnt(0)
	global_atomic_cmpswap_b64 v[0:1], v16, v[35:38], s[2:3] offset:24 glc
	s_waitcnt vmcnt(0)
	buffer_gl1_inv
	buffer_gl0_inv
	v_cmp_eq_u64_e32 vcc_lo, v[0:1], v[37:38]
	s_or_b32 s13, vcc_lo, s13
	s_delay_alu instid0(SALU_CYCLE_1)
	s_and_not1_b32 exec_lo, exec_lo, s13
	s_cbranch_execnz .LBB4_197
; %bb.198:                              ;   in Loop: Header=BB4_145 Depth=1
	s_or_b32 exec_lo, exec_lo, s13
.LBB4_199:                              ;   in Loop: Header=BB4_145 Depth=1
	s_delay_alu instid0(SALU_CYCLE_1)
	s_or_b32 exec_lo, exec_lo, s12
.LBB4_200:                              ;   in Loop: Header=BB4_145 Depth=1
	s_delay_alu instid0(SALU_CYCLE_1)
	s_or_b32 exec_lo, exec_lo, s1
	s_clause 0x1
	global_load_b64 v[3:4], v16, s[2:3] offset:40
	global_load_b128 v[35:38], v16, s[2:3]
	v_readfirstlane_b32 s12, v0
	v_readfirstlane_b32 s13, v1
	s_mov_b32 s1, exec_lo
	s_waitcnt vmcnt(1)
	v_readfirstlane_b32 s14, v3
	v_readfirstlane_b32 s15, v4
	s_delay_alu instid0(VALU_DEP_1) | instskip(NEXT) | instid1(SALU_CYCLE_1)
	s_and_b64 s[14:15], s[12:13], s[14:15]
	s_mul_i32 s16, s15, 24
	s_mul_hi_u32 s17, s14, 24
	s_mul_i32 s18, s14, 24
	s_add_i32 s17, s17, s16
	s_waitcnt vmcnt(0)
	v_add_co_u32 v0, vcc_lo, v35, s18
	v_add_co_ci_u32_e32 v1, vcc_lo, s17, v36, vcc_lo
	s_and_saveexec_b32 s16, s0
	s_cbranch_execz .LBB4_202
; %bb.201:                              ;   in Loop: Header=BB4_145 Depth=1
	v_mov_b32_e32 v15, s1
	global_store_b128 v[0:1], v[15:18], off offset:8
.LBB4_202:                              ;   in Loop: Header=BB4_145 Depth=1
	s_or_b32 exec_lo, exec_lo, s16
	s_lshl_b64 s[14:15], s[14:15], 12
	v_cmp_gt_u64_e64 vcc_lo, s[6:7], 56
	v_or_b32_e32 v3, 0, v13
	v_or_b32_e32 v4, v12, v5
	v_add_co_u32 v37, s1, v37, s14
	s_delay_alu instid0(VALU_DEP_1) | instskip(SKIP_1) | instid1(VALU_DEP_3)
	v_add_co_ci_u32_e64 v38, s1, s15, v38, s1
	s_lshl_b32 s1, s10, 2
	v_dual_cndmask_b32 v20, v3, v13 :: v_dual_cndmask_b32 v3, v4, v12
	s_add_i32 s1, s1, 28
	v_readfirstlane_b32 s14, v37
	s_and_b32 s1, s1, 0x1e0
	v_readfirstlane_b32 s15, v38
	v_and_or_b32 v19, 0xffffff1f, v3, s1
	s_clause 0x3
	global_store_b128 v39, v[19:22], s[14:15]
	global_store_b128 v39, v[23:26], s[14:15] offset:16
	global_store_b128 v39, v[27:30], s[14:15] offset:32
	global_store_b128 v39, v[31:34], s[14:15] offset:48
	s_and_saveexec_b32 s1, s0
	s_cbranch_execz .LBB4_210
; %bb.203:                              ;   in Loop: Header=BB4_145 Depth=1
	s_clause 0x1
	global_load_b64 v[21:22], v16, s[2:3] offset:32 glc
	global_load_b64 v[3:4], v16, s[2:3] offset:40
	v_dual_mov_b32 v19, s12 :: v_dual_mov_b32 v20, s13
	s_waitcnt vmcnt(0)
	v_readfirstlane_b32 s14, v3
	v_readfirstlane_b32 s15, v4
	s_delay_alu instid0(VALU_DEP_1) | instskip(NEXT) | instid1(SALU_CYCLE_1)
	s_and_b64 s[14:15], s[14:15], s[12:13]
	s_mul_i32 s15, s15, 24
	s_mul_hi_u32 s16, s14, 24
	s_mul_i32 s14, s14, 24
	s_add_i32 s16, s16, s15
	v_add_co_u32 v3, vcc_lo, v35, s14
	v_add_co_ci_u32_e32 v4, vcc_lo, s16, v36, vcc_lo
	s_mov_b32 s14, exec_lo
	global_store_b64 v[3:4], v[21:22], off
	s_waitcnt_vscnt null, 0x0
	global_atomic_cmpswap_b64 v[14:15], v16, v[19:22], s[2:3] offset:32 glc
	s_waitcnt vmcnt(0)
	v_cmpx_ne_u64_e64 v[14:15], v[21:22]
	s_cbranch_execz .LBB4_206
; %bb.204:                              ;   in Loop: Header=BB4_145 Depth=1
	s_mov_b32 s15, 0
.LBB4_205:                              ;   Parent Loop BB4_145 Depth=1
                                        ; =>  This Inner Loop Header: Depth=2
	v_dual_mov_b32 v12, s12 :: v_dual_mov_b32 v13, s13
	s_sleep 1
	global_store_b64 v[3:4], v[14:15], off
	s_waitcnt_vscnt null, 0x0
	global_atomic_cmpswap_b64 v[12:13], v16, v[12:15], s[2:3] offset:32 glc
	s_waitcnt vmcnt(0)
	v_cmp_eq_u64_e32 vcc_lo, v[12:13], v[14:15]
	v_dual_mov_b32 v15, v13 :: v_dual_mov_b32 v14, v12
	s_or_b32 s15, vcc_lo, s15
	s_delay_alu instid0(SALU_CYCLE_1)
	s_and_not1_b32 exec_lo, exec_lo, s15
	s_cbranch_execnz .LBB4_205
.LBB4_206:                              ;   in Loop: Header=BB4_145 Depth=1
	s_or_b32 exec_lo, exec_lo, s14
	global_load_b64 v[3:4], v16, s[2:3] offset:16
	s_mov_b32 s15, exec_lo
	s_mov_b32 s14, exec_lo
	v_mbcnt_lo_u32_b32 v12, s15, 0
	s_delay_alu instid0(VALU_DEP_1)
	v_cmpx_eq_u32_e32 0, v12
	s_cbranch_execz .LBB4_208
; %bb.207:                              ;   in Loop: Header=BB4_145 Depth=1
	s_bcnt1_i32_b32 s15, s15
	s_delay_alu instid0(SALU_CYCLE_1)
	v_mov_b32_e32 v15, s15
	s_waitcnt vmcnt(0)
	global_atomic_add_u64 v[3:4], v[15:16], off offset:8
.LBB4_208:                              ;   in Loop: Header=BB4_145 Depth=1
	s_or_b32 exec_lo, exec_lo, s14
	s_waitcnt vmcnt(0)
	global_load_b64 v[12:13], v[3:4], off offset:16
	s_waitcnt vmcnt(0)
	v_cmp_eq_u64_e32 vcc_lo, 0, v[12:13]
	s_cbranch_vccnz .LBB4_210
; %bb.209:                              ;   in Loop: Header=BB4_145 Depth=1
	global_load_b32 v15, v[3:4], off offset:24
	s_waitcnt vmcnt(0)
	v_and_b32_e32 v3, 0xffffff, v15
	s_waitcnt_vscnt null, 0x0
	global_store_b64 v[12:13], v[15:16], off
	v_readfirstlane_b32 m0, v3
	s_sendmsg sendmsg(MSG_INTERRUPT)
.LBB4_210:                              ;   in Loop: Header=BB4_145 Depth=1
	s_or_b32 exec_lo, exec_lo, s1
	v_add_co_u32 v3, vcc_lo, v37, v39
	v_add_co_ci_u32_e32 v4, vcc_lo, 0, v38, vcc_lo
	s_branch .LBB4_214
	.p2align	6
.LBB4_211:                              ;   in Loop: Header=BB4_214 Depth=2
	s_or_b32 exec_lo, exec_lo, s1
	s_delay_alu instid0(VALU_DEP_1) | instskip(NEXT) | instid1(VALU_DEP_1)
	v_readfirstlane_b32 s1, v12
	s_cmp_eq_u32 s1, 0
	s_cbranch_scc1 .LBB4_213
; %bb.212:                              ;   in Loop: Header=BB4_214 Depth=2
	s_sleep 1
	s_cbranch_execnz .LBB4_214
	s_branch .LBB4_216
	.p2align	6
.LBB4_213:                              ;   in Loop: Header=BB4_145 Depth=1
	s_branch .LBB4_216
.LBB4_214:                              ;   Parent Loop BB4_145 Depth=1
                                        ; =>  This Inner Loop Header: Depth=2
	v_mov_b32_e32 v12, 1
	s_and_saveexec_b32 s1, s0
	s_cbranch_execz .LBB4_211
; %bb.215:                              ;   in Loop: Header=BB4_214 Depth=2
	global_load_b32 v12, v[0:1], off offset:20 glc
	s_waitcnt vmcnt(0)
	buffer_gl1_inv
	buffer_gl0_inv
	v_and_b32_e32 v12, 1, v12
	s_branch .LBB4_211
.LBB4_216:                              ;   in Loop: Header=BB4_145 Depth=1
	global_load_b128 v[12:15], v[3:4], off
	s_and_saveexec_b32 s1, s0
	s_cbranch_execz .LBB4_144
; %bb.217:                              ;   in Loop: Header=BB4_145 Depth=1
	s_clause 0x2
	global_load_b64 v[0:1], v16, s[2:3] offset:40
	global_load_b64 v[3:4], v16, s[2:3] offset:24 glc
	global_load_b64 v[14:15], v16, s[2:3]
	s_waitcnt vmcnt(2)
	v_add_co_u32 v21, vcc_lo, v0, 1
	v_add_co_ci_u32_e32 v22, vcc_lo, 0, v1, vcc_lo
	s_delay_alu instid0(VALU_DEP_2) | instskip(NEXT) | instid1(VALU_DEP_2)
	v_add_co_u32 v19, vcc_lo, v21, s12
	v_add_co_ci_u32_e32 v20, vcc_lo, s13, v22, vcc_lo
	s_delay_alu instid0(VALU_DEP_1) | instskip(SKIP_3) | instid1(VALU_DEP_2)
	v_cmp_eq_u64_e32 vcc_lo, 0, v[19:20]
	v_dual_cndmask_b32 v20, v20, v22 :: v_dual_cndmask_b32 v19, v19, v21
	s_waitcnt vmcnt(1)
	v_mov_b32_e32 v22, v4
	v_and_b32_e32 v1, v20, v1
	s_delay_alu instid0(VALU_DEP_3) | instskip(NEXT) | instid1(VALU_DEP_2)
	v_and_b32_e32 v0, v19, v0
	v_mul_lo_u32 v1, v1, 24
	s_delay_alu instid0(VALU_DEP_2) | instskip(SKIP_1) | instid1(VALU_DEP_2)
	v_mul_hi_u32 v21, v0, 24
	v_mul_lo_u32 v0, v0, 24
	v_add_nc_u32_e32 v1, v21, v1
	s_waitcnt vmcnt(0)
	s_delay_alu instid0(VALU_DEP_2) | instskip(SKIP_1) | instid1(VALU_DEP_3)
	v_add_co_u32 v0, vcc_lo, v14, v0
	v_mov_b32_e32 v21, v3
	v_add_co_ci_u32_e32 v1, vcc_lo, v15, v1, vcc_lo
	global_store_b64 v[0:1], v[3:4], off
	s_waitcnt_vscnt null, 0x0
	global_atomic_cmpswap_b64 v[21:22], v16, v[19:22], s[2:3] offset:24 glc
	s_waitcnt vmcnt(0)
	v_cmp_ne_u64_e32 vcc_lo, v[21:22], v[3:4]
	s_and_b32 exec_lo, exec_lo, vcc_lo
	s_cbranch_execz .LBB4_144
; %bb.218:                              ;   in Loop: Header=BB4_145 Depth=1
	s_mov_b32 s0, 0
.LBB4_219:                              ;   Parent Loop BB4_145 Depth=1
                                        ; =>  This Inner Loop Header: Depth=2
	s_sleep 1
	global_store_b64 v[0:1], v[21:22], off
	s_waitcnt_vscnt null, 0x0
	global_atomic_cmpswap_b64 v[3:4], v16, v[19:22], s[2:3] offset:24 glc
	s_waitcnt vmcnt(0)
	v_cmp_eq_u64_e32 vcc_lo, v[3:4], v[21:22]
	v_dual_mov_b32 v22, v4 :: v_dual_mov_b32 v21, v3
	s_or_b32 s0, vcc_lo, s0
	s_delay_alu instid0(SALU_CYCLE_1)
	s_and_not1_b32 exec_lo, exec_lo, s0
	s_cbranch_execnz .LBB4_219
	s_branch .LBB4_144
.LBB4_220:
                                        ; implicit-def: $vgpr12_vgpr13
	s_cbranch_execnz .LBB4_222
	s_branch .LBB4_249
.LBB4_221:
	s_branch .LBB4_249
.LBB4_222:
	v_readfirstlane_b32 s0, v48
	v_mov_b32_e32 v0, 0
	v_mov_b32_e32 v1, 0
	s_delay_alu instid0(VALU_DEP_3) | instskip(NEXT) | instid1(VALU_DEP_1)
	v_cmp_eq_u32_e64 s0, s0, v48
	s_and_saveexec_b32 s1, s0
	s_cbranch_execz .LBB4_228
; %bb.223:
	v_mov_b32_e32 v3, 0
	s_mov_b32 s4, exec_lo
	global_load_b64 v[14:15], v3, s[2:3] offset:24 glc
	s_waitcnt vmcnt(0)
	buffer_gl1_inv
	buffer_gl0_inv
	s_clause 0x1
	global_load_b64 v[0:1], v3, s[2:3] offset:40
	global_load_b64 v[4:5], v3, s[2:3]
	s_waitcnt vmcnt(1)
	v_and_b32_e32 v0, v0, v14
	v_and_b32_e32 v1, v1, v15
	s_delay_alu instid0(VALU_DEP_2) | instskip(NEXT) | instid1(VALU_DEP_2)
	v_mul_hi_u32 v12, v0, 24
	v_mul_lo_u32 v1, v1, 24
	v_mul_lo_u32 v0, v0, 24
	s_delay_alu instid0(VALU_DEP_2) | instskip(SKIP_1) | instid1(VALU_DEP_2)
	v_add_nc_u32_e32 v1, v12, v1
	s_waitcnt vmcnt(0)
	v_add_co_u32 v0, vcc_lo, v4, v0
	s_delay_alu instid0(VALU_DEP_2)
	v_add_co_ci_u32_e32 v1, vcc_lo, v5, v1, vcc_lo
	global_load_b64 v[12:13], v[0:1], off glc
	s_waitcnt vmcnt(0)
	global_atomic_cmpswap_b64 v[0:1], v3, v[12:15], s[2:3] offset:24 glc
	s_waitcnt vmcnt(0)
	buffer_gl1_inv
	buffer_gl0_inv
	v_cmpx_ne_u64_e64 v[0:1], v[14:15]
	s_cbranch_execz .LBB4_227
; %bb.224:
	s_mov_b32 s5, 0
	.p2align	6
.LBB4_225:                              ; =>This Inner Loop Header: Depth=1
	s_sleep 1
	s_clause 0x1
	global_load_b64 v[4:5], v3, s[2:3] offset:40
	global_load_b64 v[12:13], v3, s[2:3]
	v_dual_mov_b32 v15, v1 :: v_dual_mov_b32 v14, v0
	s_waitcnt vmcnt(1)
	s_delay_alu instid0(VALU_DEP_1) | instskip(SKIP_1) | instid1(VALU_DEP_1)
	v_and_b32_e32 v4, v4, v14
	s_waitcnt vmcnt(0)
	v_mad_u64_u32 v[0:1], null, v4, 24, v[12:13]
	v_and_b32_e32 v12, v5, v15
	s_delay_alu instid0(VALU_DEP_1) | instskip(NEXT) | instid1(VALU_DEP_1)
	v_mad_u64_u32 v[4:5], null, v12, 24, v[1:2]
	v_mov_b32_e32 v1, v4
	global_load_b64 v[12:13], v[0:1], off glc
	s_waitcnt vmcnt(0)
	global_atomic_cmpswap_b64 v[0:1], v3, v[12:15], s[2:3] offset:24 glc
	s_waitcnt vmcnt(0)
	buffer_gl1_inv
	buffer_gl0_inv
	v_cmp_eq_u64_e32 vcc_lo, v[0:1], v[14:15]
	s_or_b32 s5, vcc_lo, s5
	s_delay_alu instid0(SALU_CYCLE_1)
	s_and_not1_b32 exec_lo, exec_lo, s5
	s_cbranch_execnz .LBB4_225
; %bb.226:
	s_or_b32 exec_lo, exec_lo, s5
.LBB4_227:
	s_delay_alu instid0(SALU_CYCLE_1)
	s_or_b32 exec_lo, exec_lo, s4
.LBB4_228:
	s_delay_alu instid0(SALU_CYCLE_1)
	s_or_b32 exec_lo, exec_lo, s1
	s_waitcnt vmcnt(0)
	v_mov_b32_e32 v12, 0
	v_readfirstlane_b32 s4, v0
	v_readfirstlane_b32 s5, v1
	s_mov_b32 s1, exec_lo
	s_clause 0x1
	global_load_b64 v[3:4], v12, s[2:3] offset:40
	global_load_b128 v[14:17], v12, s[2:3]
	s_waitcnt vmcnt(1)
	v_readfirstlane_b32 s6, v3
	v_readfirstlane_b32 s7, v4
	s_delay_alu instid0(VALU_DEP_1) | instskip(NEXT) | instid1(SALU_CYCLE_1)
	s_and_b64 s[6:7], s[4:5], s[6:7]
	s_mul_i32 s10, s7, 24
	s_mul_hi_u32 s11, s6, 24
	s_mul_i32 s12, s6, 24
	s_add_i32 s11, s11, s10
	s_waitcnt vmcnt(0)
	v_add_co_u32 v0, vcc_lo, v14, s12
	v_add_co_ci_u32_e32 v1, vcc_lo, s11, v15, vcc_lo
	s_and_saveexec_b32 s10, s0
	s_cbranch_execz .LBB4_230
; %bb.229:
	v_dual_mov_b32 v18, s1 :: v_dual_mov_b32 v19, v12
	v_dual_mov_b32 v20, 2 :: v_dual_mov_b32 v21, 1
	global_store_b128 v[0:1], v[18:21], off offset:8
.LBB4_230:
	s_or_b32 exec_lo, exec_lo, s10
	s_lshl_b64 s[6:7], s[6:7], 12
	s_mov_b32 s12, 0
	v_add_co_u32 v3, vcc_lo, v16, s6
	v_add_co_ci_u32_e32 v4, vcc_lo, s7, v17, vcc_lo
	s_mov_b32 s15, s12
	s_delay_alu instid0(VALU_DEP_2)
	v_readfirstlane_b32 s6, v3
	v_add_co_u32 v3, vcc_lo, v3, v39
	s_mov_b32 s13, s12
	s_mov_b32 s14, s12
	v_and_or_b32 v10, 0xffffff1f, v10, 32
	v_mov_b32_e32 v13, v12
	v_readfirstlane_b32 s7, v4
	v_dual_mov_b32 v19, s15 :: v_dual_mov_b32 v16, s12
	v_add_co_ci_u32_e32 v4, vcc_lo, 0, v4, vcc_lo
	v_dual_mov_b32 v18, s14 :: v_dual_mov_b32 v17, s13
	s_clause 0x3
	global_store_b128 v39, v[10:13], s[6:7]
	global_store_b128 v39, v[16:19], s[6:7] offset:16
	global_store_b128 v39, v[16:19], s[6:7] offset:32
	;; [unrolled: 1-line block ×3, first 2 shown]
	s_and_saveexec_b32 s1, s0
	s_cbranch_execz .LBB4_238
; %bb.231:
	v_dual_mov_b32 v5, 0 :: v_dual_mov_b32 v16, s4
	v_mov_b32_e32 v17, s5
	s_clause 0x1
	global_load_b64 v[18:19], v5, s[2:3] offset:32 glc
	global_load_b64 v[10:11], v5, s[2:3] offset:40
	s_waitcnt vmcnt(0)
	v_readfirstlane_b32 s6, v10
	v_readfirstlane_b32 s7, v11
	s_delay_alu instid0(VALU_DEP_1) | instskip(NEXT) | instid1(SALU_CYCLE_1)
	s_and_b64 s[6:7], s[6:7], s[4:5]
	s_mul_i32 s7, s7, 24
	s_mul_hi_u32 s10, s6, 24
	s_mul_i32 s6, s6, 24
	s_add_i32 s10, s10, s7
	v_add_co_u32 v14, vcc_lo, v14, s6
	v_add_co_ci_u32_e32 v15, vcc_lo, s10, v15, vcc_lo
	s_mov_b32 s6, exec_lo
	global_store_b64 v[14:15], v[18:19], off
	s_waitcnt_vscnt null, 0x0
	global_atomic_cmpswap_b64 v[12:13], v5, v[16:19], s[2:3] offset:32 glc
	s_waitcnt vmcnt(0)
	v_cmpx_ne_u64_e64 v[12:13], v[18:19]
	s_cbranch_execz .LBB4_234
; %bb.232:
	s_mov_b32 s7, 0
.LBB4_233:                              ; =>This Inner Loop Header: Depth=1
	v_dual_mov_b32 v10, s4 :: v_dual_mov_b32 v11, s5
	s_sleep 1
	global_store_b64 v[14:15], v[12:13], off
	s_waitcnt_vscnt null, 0x0
	global_atomic_cmpswap_b64 v[10:11], v5, v[10:13], s[2:3] offset:32 glc
	s_waitcnt vmcnt(0)
	v_cmp_eq_u64_e32 vcc_lo, v[10:11], v[12:13]
	v_dual_mov_b32 v13, v11 :: v_dual_mov_b32 v12, v10
	s_or_b32 s7, vcc_lo, s7
	s_delay_alu instid0(SALU_CYCLE_1)
	s_and_not1_b32 exec_lo, exec_lo, s7
	s_cbranch_execnz .LBB4_233
.LBB4_234:
	s_or_b32 exec_lo, exec_lo, s6
	v_mov_b32_e32 v13, 0
	s_mov_b32 s7, exec_lo
	s_mov_b32 s6, exec_lo
	v_mbcnt_lo_u32_b32 v5, s7, 0
	global_load_b64 v[10:11], v13, s[2:3] offset:16
	v_cmpx_eq_u32_e32 0, v5
	s_cbranch_execz .LBB4_236
; %bb.235:
	s_bcnt1_i32_b32 s7, s7
	s_delay_alu instid0(SALU_CYCLE_1)
	v_mov_b32_e32 v12, s7
	s_waitcnt vmcnt(0)
	global_atomic_add_u64 v[10:11], v[12:13], off offset:8
.LBB4_236:
	s_or_b32 exec_lo, exec_lo, s6
	s_waitcnt vmcnt(0)
	global_load_b64 v[12:13], v[10:11], off offset:16
	s_waitcnt vmcnt(0)
	v_cmp_eq_u64_e32 vcc_lo, 0, v[12:13]
	s_cbranch_vccnz .LBB4_238
; %bb.237:
	global_load_b32 v10, v[10:11], off offset:24
	v_mov_b32_e32 v11, 0
	s_waitcnt vmcnt(0)
	v_and_b32_e32 v5, 0xffffff, v10
	s_waitcnt_vscnt null, 0x0
	global_store_b64 v[12:13], v[10:11], off
	v_readfirstlane_b32 m0, v5
	s_sendmsg sendmsg(MSG_INTERRUPT)
.LBB4_238:
	s_or_b32 exec_lo, exec_lo, s1
	s_branch .LBB4_242
	.p2align	6
.LBB4_239:                              ;   in Loop: Header=BB4_242 Depth=1
	s_or_b32 exec_lo, exec_lo, s1
	s_delay_alu instid0(VALU_DEP_1) | instskip(NEXT) | instid1(VALU_DEP_1)
	v_readfirstlane_b32 s1, v5
	s_cmp_eq_u32 s1, 0
	s_cbranch_scc1 .LBB4_241
; %bb.240:                              ;   in Loop: Header=BB4_242 Depth=1
	s_sleep 1
	s_cbranch_execnz .LBB4_242
	s_branch .LBB4_244
	.p2align	6
.LBB4_241:
	s_branch .LBB4_244
.LBB4_242:                              ; =>This Inner Loop Header: Depth=1
	v_mov_b32_e32 v5, 1
	s_and_saveexec_b32 s1, s0
	s_cbranch_execz .LBB4_239
; %bb.243:                              ;   in Loop: Header=BB4_242 Depth=1
	global_load_b32 v5, v[0:1], off offset:20 glc
	s_waitcnt vmcnt(0)
	buffer_gl1_inv
	buffer_gl0_inv
	v_and_b32_e32 v5, 1, v5
	s_branch .LBB4_239
.LBB4_244:
	global_load_b64 v[12:13], v[3:4], off
	s_and_saveexec_b32 s1, s0
	s_cbranch_execz .LBB4_248
; %bb.245:
	v_mov_b32_e32 v3, 0
	s_clause 0x2
	global_load_b64 v[0:1], v3, s[2:3] offset:40
	global_load_b64 v[4:5], v3, s[2:3] offset:24 glc
	global_load_b64 v[10:11], v3, s[2:3]
	s_waitcnt vmcnt(2)
	v_add_co_u32 v16, vcc_lo, v0, 1
	v_add_co_ci_u32_e32 v17, vcc_lo, 0, v1, vcc_lo
	s_delay_alu instid0(VALU_DEP_2) | instskip(NEXT) | instid1(VALU_DEP_2)
	v_add_co_u32 v14, vcc_lo, v16, s4
	v_add_co_ci_u32_e32 v15, vcc_lo, s5, v17, vcc_lo
	s_delay_alu instid0(VALU_DEP_1) | instskip(SKIP_2) | instid1(VALU_DEP_1)
	v_cmp_eq_u64_e32 vcc_lo, 0, v[14:15]
	v_dual_cndmask_b32 v14, v14, v16 :: v_dual_cndmask_b32 v15, v15, v17
	s_waitcnt vmcnt(1)
	v_dual_mov_b32 v17, v5 :: v_dual_and_b32 v0, v14, v0
	s_delay_alu instid0(VALU_DEP_2) | instskip(NEXT) | instid1(VALU_DEP_2)
	v_and_b32_e32 v1, v15, v1
	v_mul_hi_u32 v16, v0, 24
	s_delay_alu instid0(VALU_DEP_2) | instskip(SKIP_1) | instid1(VALU_DEP_2)
	v_mul_lo_u32 v1, v1, 24
	v_mul_lo_u32 v0, v0, 24
	v_add_nc_u32_e32 v1, v16, v1
	v_mov_b32_e32 v16, v4
	s_waitcnt vmcnt(0)
	s_delay_alu instid0(VALU_DEP_3) | instskip(NEXT) | instid1(VALU_DEP_3)
	v_add_co_u32 v0, vcc_lo, v10, v0
	v_add_co_ci_u32_e32 v1, vcc_lo, v11, v1, vcc_lo
	global_store_b64 v[0:1], v[4:5], off
	s_waitcnt_vscnt null, 0x0
	global_atomic_cmpswap_b64 v[16:17], v3, v[14:17], s[2:3] offset:24 glc
	s_waitcnt vmcnt(0)
	v_cmp_ne_u64_e32 vcc_lo, v[16:17], v[4:5]
	s_and_b32 exec_lo, exec_lo, vcc_lo
	s_cbranch_execz .LBB4_248
; %bb.246:
	s_mov_b32 s0, 0
.LBB4_247:                              ; =>This Inner Loop Header: Depth=1
	s_sleep 1
	global_store_b64 v[0:1], v[16:17], off
	s_waitcnt_vscnt null, 0x0
	global_atomic_cmpswap_b64 v[4:5], v3, v[14:17], s[2:3] offset:24 glc
	s_waitcnt vmcnt(0)
	v_cmp_eq_u64_e32 vcc_lo, v[4:5], v[16:17]
	v_dual_mov_b32 v17, v5 :: v_dual_mov_b32 v16, v4
	s_or_b32 s0, vcc_lo, s0
	s_delay_alu instid0(SALU_CYCLE_1)
	s_and_not1_b32 exec_lo, exec_lo, s0
	s_cbranch_execnz .LBB4_247
.LBB4_248:
	s_or_b32 exec_lo, exec_lo, s1
.LBB4_249:
	v_readfirstlane_b32 s0, v48
	v_mov_b32_e32 v0, 0
	v_mov_b32_e32 v1, 0
	s_delay_alu instid0(VALU_DEP_3) | instskip(NEXT) | instid1(VALU_DEP_1)
	v_cmp_eq_u32_e64 s0, s0, v48
	s_and_saveexec_b32 s1, s0
	s_cbranch_execz .LBB4_255
; %bb.250:
	v_mov_b32_e32 v3, 0
	s_mov_b32 s4, exec_lo
	global_load_b64 v[16:17], v3, s[2:3] offset:24 glc
	s_waitcnt vmcnt(0)
	buffer_gl1_inv
	buffer_gl0_inv
	s_clause 0x1
	global_load_b64 v[0:1], v3, s[2:3] offset:40
	global_load_b64 v[4:5], v3, s[2:3]
	s_waitcnt vmcnt(1)
	v_and_b32_e32 v0, v0, v16
	v_and_b32_e32 v1, v1, v17
	s_delay_alu instid0(VALU_DEP_2) | instskip(NEXT) | instid1(VALU_DEP_2)
	v_mul_hi_u32 v10, v0, 24
	v_mul_lo_u32 v1, v1, 24
	v_mul_lo_u32 v0, v0, 24
	s_delay_alu instid0(VALU_DEP_2) | instskip(SKIP_1) | instid1(VALU_DEP_2)
	v_add_nc_u32_e32 v1, v10, v1
	s_waitcnt vmcnt(0)
	v_add_co_u32 v0, vcc_lo, v4, v0
	s_delay_alu instid0(VALU_DEP_2)
	v_add_co_ci_u32_e32 v1, vcc_lo, v5, v1, vcc_lo
	global_load_b64 v[14:15], v[0:1], off glc
	s_waitcnt vmcnt(0)
	global_atomic_cmpswap_b64 v[0:1], v3, v[14:17], s[2:3] offset:24 glc
	s_waitcnt vmcnt(0)
	buffer_gl1_inv
	buffer_gl0_inv
	v_cmpx_ne_u64_e64 v[0:1], v[16:17]
	s_cbranch_execz .LBB4_254
; %bb.251:
	s_mov_b32 s5, 0
	.p2align	6
.LBB4_252:                              ; =>This Inner Loop Header: Depth=1
	s_sleep 1
	s_clause 0x1
	global_load_b64 v[4:5], v3, s[2:3] offset:40
	global_load_b64 v[10:11], v3, s[2:3]
	v_dual_mov_b32 v17, v1 :: v_dual_mov_b32 v16, v0
	s_waitcnt vmcnt(1)
	s_delay_alu instid0(VALU_DEP_1) | instskip(SKIP_1) | instid1(VALU_DEP_1)
	v_and_b32_e32 v4, v4, v16
	s_waitcnt vmcnt(0)
	v_mad_u64_u32 v[0:1], null, v4, 24, v[10:11]
	v_and_b32_e32 v10, v5, v17
	s_delay_alu instid0(VALU_DEP_1) | instskip(NEXT) | instid1(VALU_DEP_1)
	v_mad_u64_u32 v[4:5], null, v10, 24, v[1:2]
	v_mov_b32_e32 v1, v4
	global_load_b64 v[14:15], v[0:1], off glc
	s_waitcnt vmcnt(0)
	global_atomic_cmpswap_b64 v[0:1], v3, v[14:17], s[2:3] offset:24 glc
	s_waitcnt vmcnt(0)
	buffer_gl1_inv
	buffer_gl0_inv
	v_cmp_eq_u64_e32 vcc_lo, v[0:1], v[16:17]
	s_or_b32 s5, vcc_lo, s5
	s_delay_alu instid0(SALU_CYCLE_1)
	s_and_not1_b32 exec_lo, exec_lo, s5
	s_cbranch_execnz .LBB4_252
; %bb.253:
	s_or_b32 exec_lo, exec_lo, s5
.LBB4_254:
	s_delay_alu instid0(SALU_CYCLE_1)
	s_or_b32 exec_lo, exec_lo, s4
.LBB4_255:
	s_delay_alu instid0(SALU_CYCLE_1)
	s_or_b32 exec_lo, exec_lo, s1
	s_waitcnt vmcnt(0)
	v_mov_b32_e32 v15, 0
	v_readfirstlane_b32 s4, v0
	v_readfirstlane_b32 s5, v1
	s_mov_b32 s1, exec_lo
	s_clause 0x1
	global_load_b64 v[3:4], v15, s[2:3] offset:40
	global_load_b128 v[16:19], v15, s[2:3]
	s_waitcnt vmcnt(1)
	v_readfirstlane_b32 s6, v3
	v_readfirstlane_b32 s7, v4
	s_delay_alu instid0(VALU_DEP_1) | instskip(NEXT) | instid1(SALU_CYCLE_1)
	s_and_b64 s[6:7], s[4:5], s[6:7]
	s_mul_i32 s10, s7, 24
	s_mul_hi_u32 s11, s6, 24
	s_mul_i32 s12, s6, 24
	s_add_i32 s11, s11, s10
	s_waitcnt vmcnt(0)
	v_add_co_u32 v4, vcc_lo, v16, s12
	v_add_co_ci_u32_e32 v5, vcc_lo, s11, v17, vcc_lo
	s_and_saveexec_b32 s10, s0
	s_cbranch_execz .LBB4_257
; %bb.256:
	v_dual_mov_b32 v14, s1 :: v_dual_mov_b32 v23, 1
	v_dual_mov_b32 v22, 2 :: v_dual_mov_b32 v21, v15
	s_delay_alu instid0(VALU_DEP_2)
	v_mov_b32_e32 v20, v14
	global_store_b128 v[4:5], v[20:23], off offset:8
.LBB4_257:
	s_or_b32 exec_lo, exec_lo, s10
	s_lshl_b64 s[6:7], s[6:7], 12
	s_mov_b32 s12, 0
	v_add_co_u32 v10, vcc_lo, v18, s6
	v_add_co_ci_u32_e32 v11, vcc_lo, s7, v19, vcc_lo
	s_mov_b32 s13, s12
	s_delay_alu instid0(VALU_DEP_2)
	v_readfirstlane_b32 s6, v10
	v_add_co_u32 v10, vcc_lo, v10, v39
	s_mov_b32 s14, s12
	s_mov_b32 s15, s12
	v_and_or_b32 v12, 0xffffff1f, v12, 32
	v_mov_b32_e32 v14, v2
	v_readfirstlane_b32 s7, v11
	v_dual_mov_b32 v0, s12 :: v_dual_mov_b32 v3, s15
	v_add_co_ci_u32_e32 v11, vcc_lo, 0, v11, vcc_lo
	v_dual_mov_b32 v1, s13 :: v_dual_mov_b32 v2, s14
	s_clause 0x3
	global_store_b128 v39, v[12:15], s[6:7]
	global_store_b128 v39, v[0:3], s[6:7] offset:16
	global_store_b128 v39, v[0:3], s[6:7] offset:32
	;; [unrolled: 1-line block ×3, first 2 shown]
	s_and_saveexec_b32 s1, s0
	s_cbranch_execz .LBB4_265
; %bb.258:
	v_mov_b32_e32 v14, 0
	s_clause 0x1
	global_load_b64 v[18:19], v14, s[2:3] offset:32 glc
	global_load_b64 v[0:1], v14, s[2:3] offset:40
	s_waitcnt vmcnt(0)
	v_readfirstlane_b32 s6, v0
	v_readfirstlane_b32 s7, v1
	s_delay_alu instid0(VALU_DEP_1) | instskip(NEXT) | instid1(SALU_CYCLE_1)
	s_and_b64 s[6:7], s[6:7], s[4:5]
	s_mul_i32 s7, s7, 24
	s_mul_hi_u32 s10, s6, 24
	s_mul_i32 s6, s6, 24
	s_add_i32 s10, s10, s7
	v_add_co_u32 v12, vcc_lo, v16, s6
	v_add_co_ci_u32_e32 v13, vcc_lo, s10, v17, vcc_lo
	v_dual_mov_b32 v17, s5 :: v_dual_mov_b32 v16, s4
	s_mov_b32 s6, exec_lo
	global_store_b64 v[12:13], v[18:19], off
	s_waitcnt_vscnt null, 0x0
	global_atomic_cmpswap_b64 v[2:3], v14, v[16:19], s[2:3] offset:32 glc
	s_waitcnt vmcnt(0)
	v_cmpx_ne_u64_e64 v[2:3], v[18:19]
	s_cbranch_execz .LBB4_261
; %bb.259:
	s_mov_b32 s7, 0
.LBB4_260:                              ; =>This Inner Loop Header: Depth=1
	v_dual_mov_b32 v0, s4 :: v_dual_mov_b32 v1, s5
	s_sleep 1
	global_store_b64 v[12:13], v[2:3], off
	s_waitcnt_vscnt null, 0x0
	global_atomic_cmpswap_b64 v[0:1], v14, v[0:3], s[2:3] offset:32 glc
	s_waitcnt vmcnt(0)
	v_cmp_eq_u64_e32 vcc_lo, v[0:1], v[2:3]
	v_dual_mov_b32 v3, v1 :: v_dual_mov_b32 v2, v0
	s_or_b32 s7, vcc_lo, s7
	s_delay_alu instid0(SALU_CYCLE_1)
	s_and_not1_b32 exec_lo, exec_lo, s7
	s_cbranch_execnz .LBB4_260
.LBB4_261:
	s_or_b32 exec_lo, exec_lo, s6
	v_mov_b32_e32 v3, 0
	s_mov_b32 s7, exec_lo
	s_mov_b32 s6, exec_lo
	v_mbcnt_lo_u32_b32 v2, s7, 0
	global_load_b64 v[0:1], v3, s[2:3] offset:16
	v_cmpx_eq_u32_e32 0, v2
	s_cbranch_execz .LBB4_263
; %bb.262:
	s_bcnt1_i32_b32 s7, s7
	s_delay_alu instid0(SALU_CYCLE_1)
	v_mov_b32_e32 v2, s7
	s_waitcnt vmcnt(0)
	global_atomic_add_u64 v[0:1], v[2:3], off offset:8
.LBB4_263:
	s_or_b32 exec_lo, exec_lo, s6
	s_waitcnt vmcnt(0)
	global_load_b64 v[2:3], v[0:1], off offset:16
	s_waitcnt vmcnt(0)
	v_cmp_eq_u64_e32 vcc_lo, 0, v[2:3]
	s_cbranch_vccnz .LBB4_265
; %bb.264:
	global_load_b32 v0, v[0:1], off offset:24
	s_waitcnt vmcnt(0)
	v_dual_mov_b32 v1, 0 :: v_dual_and_b32 v12, 0xffffff, v0
	s_waitcnt_vscnt null, 0x0
	global_store_b64 v[2:3], v[0:1], off
	v_readfirstlane_b32 m0, v12
	s_sendmsg sendmsg(MSG_INTERRUPT)
.LBB4_265:
	s_or_b32 exec_lo, exec_lo, s1
	s_branch .LBB4_269
	.p2align	6
.LBB4_266:                              ;   in Loop: Header=BB4_269 Depth=1
	s_or_b32 exec_lo, exec_lo, s1
	s_delay_alu instid0(VALU_DEP_1) | instskip(NEXT) | instid1(VALU_DEP_1)
	v_readfirstlane_b32 s1, v0
	s_cmp_eq_u32 s1, 0
	s_cbranch_scc1 .LBB4_268
; %bb.267:                              ;   in Loop: Header=BB4_269 Depth=1
	s_sleep 1
	s_cbranch_execnz .LBB4_269
	s_branch .LBB4_271
	.p2align	6
.LBB4_268:
	s_branch .LBB4_271
.LBB4_269:                              ; =>This Inner Loop Header: Depth=1
	v_mov_b32_e32 v0, 1
	s_and_saveexec_b32 s1, s0
	s_cbranch_execz .LBB4_266
; %bb.270:                              ;   in Loop: Header=BB4_269 Depth=1
	global_load_b32 v0, v[4:5], off offset:20 glc
	s_waitcnt vmcnt(0)
	buffer_gl1_inv
	buffer_gl0_inv
	v_and_b32_e32 v0, 1, v0
	s_branch .LBB4_266
.LBB4_271:
	global_load_b64 v[0:1], v[10:11], off
	s_and_saveexec_b32 s1, s0
	s_cbranch_execz .LBB4_275
; %bb.272:
	v_mov_b32_e32 v12, 0
	s_clause 0x2
	global_load_b64 v[4:5], v12, s[2:3] offset:40
	global_load_b64 v[13:14], v12, s[2:3] offset:24 glc
	global_load_b64 v[10:11], v12, s[2:3]
	s_waitcnt vmcnt(2)
	v_add_co_u32 v15, vcc_lo, v4, 1
	v_add_co_ci_u32_e32 v16, vcc_lo, 0, v5, vcc_lo
	s_delay_alu instid0(VALU_DEP_2) | instskip(NEXT) | instid1(VALU_DEP_2)
	v_add_co_u32 v2, vcc_lo, v15, s4
	v_add_co_ci_u32_e32 v3, vcc_lo, s5, v16, vcc_lo
	s_delay_alu instid0(VALU_DEP_1) | instskip(SKIP_1) | instid1(VALU_DEP_1)
	v_cmp_eq_u64_e32 vcc_lo, 0, v[2:3]
	v_dual_cndmask_b32 v3, v3, v16 :: v_dual_cndmask_b32 v2, v2, v15
	v_and_b32_e32 v5, v3, v5
	s_delay_alu instid0(VALU_DEP_2) | instskip(NEXT) | instid1(VALU_DEP_2)
	v_and_b32_e32 v4, v2, v4
	v_mul_lo_u32 v5, v5, 24
	s_delay_alu instid0(VALU_DEP_2) | instskip(SKIP_1) | instid1(VALU_DEP_2)
	v_mul_hi_u32 v15, v4, 24
	v_mul_lo_u32 v4, v4, 24
	v_add_nc_u32_e32 v5, v15, v5
	s_waitcnt vmcnt(0)
	s_delay_alu instid0(VALU_DEP_2) | instskip(SKIP_1) | instid1(VALU_DEP_3)
	v_add_co_u32 v10, vcc_lo, v10, v4
	v_mov_b32_e32 v4, v13
	v_add_co_ci_u32_e32 v11, vcc_lo, v11, v5, vcc_lo
	v_mov_b32_e32 v5, v14
	global_store_b64 v[10:11], v[13:14], off
	s_waitcnt_vscnt null, 0x0
	global_atomic_cmpswap_b64 v[4:5], v12, v[2:5], s[2:3] offset:24 glc
	s_waitcnt vmcnt(0)
	v_cmp_ne_u64_e32 vcc_lo, v[4:5], v[13:14]
	s_and_b32 exec_lo, exec_lo, vcc_lo
	s_cbranch_execz .LBB4_275
; %bb.273:
	s_mov_b32 s0, 0
.LBB4_274:                              ; =>This Inner Loop Header: Depth=1
	s_sleep 1
	global_store_b64 v[10:11], v[4:5], off
	s_waitcnt_vscnt null, 0x0
	global_atomic_cmpswap_b64 v[13:14], v12, v[2:5], s[2:3] offset:24 glc
	s_waitcnt vmcnt(0)
	v_cmp_eq_u64_e32 vcc_lo, v[13:14], v[4:5]
	v_dual_mov_b32 v4, v13 :: v_dual_mov_b32 v5, v14
	s_or_b32 s0, vcc_lo, s0
	s_delay_alu instid0(SALU_CYCLE_1)
	s_and_not1_b32 exec_lo, exec_lo, s0
	s_cbranch_execnz .LBB4_274
.LBB4_275:
	s_or_b32 exec_lo, exec_lo, s1
	v_dual_mov_b32 v3, v6 :: v_dual_mov_b32 v4, v7
	s_mov_b32 s0, 0
.LBB4_276:                              ; =>This Inner Loop Header: Depth=1
	flat_load_u8 v5, v[3:4]
	v_add_co_u32 v2, vcc_lo, v3, 1
	v_add_co_ci_u32_e32 v3, vcc_lo, 0, v4, vcc_lo
	s_delay_alu instid0(VALU_DEP_1) | instskip(NEXT) | instid1(VALU_DEP_3)
	v_mov_b32_e32 v4, v3
	v_mov_b32_e32 v3, v2
	s_waitcnt vmcnt(0) lgkmcnt(0)
	v_cmp_eq_u16_e32 vcc_lo, 0, v5
	s_or_b32 s0, vcc_lo, s0
	s_delay_alu instid0(SALU_CYCLE_1)
	s_and_not1_b32 exec_lo, exec_lo, s0
	s_cbranch_execnz .LBB4_276
; %bb.277:
	s_or_b32 exec_lo, exec_lo, s0
	s_delay_alu instid0(SALU_CYCLE_1)
	s_mov_b32 s0, exec_lo
	v_cmpx_ne_u64_e32 0, v[6:7]
	s_xor_b32 s10, exec_lo, s0
	s_cbranch_execz .LBB4_363
; %bb.278:
	v_sub_nc_u32_e32 v30, v2, v6
	v_dual_mov_b32 v11, 0 :: v_dual_and_b32 v34, 2, v0
	v_dual_mov_b32 v13, 1 :: v_dual_and_b32 v0, -3, v0
	v_mov_b32_e32 v12, 2
	s_delay_alu instid0(VALU_DEP_4)
	v_ashrrev_i32_e32 v31, 31, v30
	s_mov_b32 s12, 0
	s_mov_b32 s11, 0
	s_branch .LBB4_280
.LBB4_279:                              ;   in Loop: Header=BB4_280 Depth=1
	s_or_b32 exec_lo, exec_lo, s1
	v_sub_co_u32 v30, vcc_lo, v30, v32
	v_sub_co_ci_u32_e32 v31, vcc_lo, v31, v33, vcc_lo
	v_add_co_u32 v6, s0, v6, v32
	s_delay_alu instid0(VALU_DEP_1) | instskip(NEXT) | instid1(VALU_DEP_3)
	v_add_co_ci_u32_e64 v7, s0, v7, v33, s0
	v_cmp_eq_u64_e32 vcc_lo, 0, v[30:31]
	s_or_b32 s11, vcc_lo, s11
	s_delay_alu instid0(SALU_CYCLE_1)
	s_and_not1_b32 exec_lo, exec_lo, s11
	s_cbranch_execz .LBB4_362
.LBB4_280:                              ; =>This Loop Header: Depth=1
                                        ;     Child Loop BB4_283 Depth 2
                                        ;     Child Loop BB4_291 Depth 2
                                        ;     Child Loop BB4_299 Depth 2
                                        ;     Child Loop BB4_307 Depth 2
                                        ;     Child Loop BB4_315 Depth 2
                                        ;     Child Loop BB4_323 Depth 2
                                        ;     Child Loop BB4_331 Depth 2
                                        ;     Child Loop BB4_339 Depth 2
                                        ;     Child Loop BB4_347 Depth 2
                                        ;     Child Loop BB4_356 Depth 2
                                        ;     Child Loop BB4_361 Depth 2
	s_delay_alu instid0(VALU_DEP_1)
	v_cmp_gt_u64_e32 vcc_lo, 56, v[30:31]
	s_mov_b32 s1, exec_lo
                                        ; implicit-def: $vgpr2_vgpr3
                                        ; implicit-def: $sgpr4
	v_dual_cndmask_b32 v33, 0, v31 :: v_dual_cndmask_b32 v32, 56, v30
	v_cmpx_gt_u64_e32 8, v[30:31]
	s_xor_b32 s1, exec_lo, s1
	s_cbranch_execz .LBB4_286
; %bb.281:                              ;   in Loop: Header=BB4_280 Depth=1
	s_waitcnt vmcnt(0)
	v_mov_b32_e32 v2, 0
	v_mov_b32_e32 v3, 0
	s_mov_b64 s[4:5], 0
	s_mov_b32 s6, exec_lo
	v_cmpx_ne_u64_e32 0, v[30:31]
	s_cbranch_execz .LBB4_285
; %bb.282:                              ;   in Loop: Header=BB4_280 Depth=1
	v_lshlrev_b64 v[4:5], 3, v[32:33]
	v_dual_mov_b32 v2, 0 :: v_dual_mov_b32 v15, v7
	v_dual_mov_b32 v3, 0 :: v_dual_mov_b32 v14, v6
	s_mov_b32 s7, 0
	.p2align	6
.LBB4_283:                              ;   Parent Loop BB4_280 Depth=1
                                        ; =>  This Inner Loop Header: Depth=2
	flat_load_u8 v5, v[14:15]
	v_mov_b32_e32 v17, s12
	v_add_co_u32 v14, vcc_lo, v14, 1
	v_add_co_ci_u32_e32 v15, vcc_lo, 0, v15, vcc_lo
	s_waitcnt vmcnt(0) lgkmcnt(0)
	v_and_b32_e32 v16, 0xffff, v5
	s_delay_alu instid0(VALU_DEP_1) | instskip(SKIP_3) | instid1(VALU_DEP_2)
	v_lshlrev_b64 v[16:17], s4, v[16:17]
	s_add_u32 s4, s4, 8
	s_addc_u32 s5, s5, 0
	v_cmp_eq_u32_e64 s0, s4, v4
	v_or_b32_e32 v3, v17, v3
	s_delay_alu instid0(VALU_DEP_3) | instskip(NEXT) | instid1(VALU_DEP_3)
	v_or_b32_e32 v2, v16, v2
	s_or_b32 s7, s0, s7
	s_delay_alu instid0(SALU_CYCLE_1)
	s_and_not1_b32 exec_lo, exec_lo, s7
	s_cbranch_execnz .LBB4_283
; %bb.284:                              ;   in Loop: Header=BB4_280 Depth=1
	s_or_b32 exec_lo, exec_lo, s7
.LBB4_285:                              ;   in Loop: Header=BB4_280 Depth=1
	s_delay_alu instid0(SALU_CYCLE_1)
	s_or_b32 exec_lo, exec_lo, s6
	s_mov_b32 s4, 0
.LBB4_286:                              ;   in Loop: Header=BB4_280 Depth=1
	s_or_saveexec_b32 s0, s1
	v_mov_b32_e32 v4, v6
	v_dual_mov_b32 v10, s4 :: v_dual_mov_b32 v5, v7
	s_xor_b32 exec_lo, exec_lo, s0
	s_cbranch_execz .LBB4_288
; %bb.287:                              ;   in Loop: Header=BB4_280 Depth=1
	s_waitcnt vmcnt(0)
	flat_load_b64 v[2:3], v[6:7]
	v_add_nc_u32_e32 v10, -8, v32
	s_waitcnt vmcnt(0) lgkmcnt(0)
	v_and_b32_e32 v4, 0xff, v3
	v_and_b32_e32 v5, 0xff00, v3
	;; [unrolled: 1-line block ×4, first 2 shown]
	v_or3_b32 v2, v2, 0, 0
	s_delay_alu instid0(VALU_DEP_4) | instskip(NEXT) | instid1(VALU_DEP_1)
	v_or_b32_e32 v4, v4, v5
	v_or3_b32 v3, v4, v14, v3
	v_add_co_u32 v4, vcc_lo, v6, 8
	v_add_co_ci_u32_e32 v5, vcc_lo, 0, v7, vcc_lo
.LBB4_288:                              ;   in Loop: Header=BB4_280 Depth=1
	s_or_b32 exec_lo, exec_lo, s0
                                        ; implicit-def: $vgpr14_vgpr15
                                        ; implicit-def: $sgpr1
	s_delay_alu instid0(SALU_CYCLE_1)
	s_mov_b32 s0, exec_lo
	v_cmpx_gt_u32_e32 8, v10
	s_xor_b32 s6, exec_lo, s0
	s_cbranch_execz .LBB4_294
; %bb.289:                              ;   in Loop: Header=BB4_280 Depth=1
	v_mov_b32_e32 v14, 0
	v_mov_b32_e32 v15, 0
	s_mov_b32 s7, exec_lo
	v_cmpx_ne_u32_e32 0, v10
	s_cbranch_execz .LBB4_293
; %bb.290:                              ;   in Loop: Header=BB4_280 Depth=1
	v_mov_b32_e32 v14, 0
	v_mov_b32_e32 v15, 0
	s_mov_b64 s[0:1], 0
	s_mov_b32 s13, 0
	s_mov_b64 s[4:5], 0
	.p2align	6
.LBB4_291:                              ;   Parent Loop BB4_280 Depth=1
                                        ; =>  This Inner Loop Header: Depth=2
	s_delay_alu instid0(SALU_CYCLE_1)
	v_add_co_u32 v16, vcc_lo, v4, s4
	v_add_co_ci_u32_e32 v17, vcc_lo, s5, v5, vcc_lo
	s_add_u32 s4, s4, 1
	s_addc_u32 s5, s5, 0
	v_cmp_eq_u32_e32 vcc_lo, s4, v10
	flat_load_u8 v16, v[16:17]
	s_waitcnt vmcnt(0) lgkmcnt(0)
	v_dual_mov_b32 v17, s12 :: v_dual_and_b32 v16, 0xffff, v16
	s_delay_alu instid0(VALU_DEP_1) | instskip(SKIP_3) | instid1(VALU_DEP_1)
	v_lshlrev_b64 v[16:17], s0, v[16:17]
	s_add_u32 s0, s0, 8
	s_addc_u32 s1, s1, 0
	s_or_b32 s13, vcc_lo, s13
	v_or_b32_e32 v15, v17, v15
	s_delay_alu instid0(VALU_DEP_2)
	v_or_b32_e32 v14, v16, v14
	s_and_not1_b32 exec_lo, exec_lo, s13
	s_cbranch_execnz .LBB4_291
; %bb.292:                              ;   in Loop: Header=BB4_280 Depth=1
	s_or_b32 exec_lo, exec_lo, s13
.LBB4_293:                              ;   in Loop: Header=BB4_280 Depth=1
	s_delay_alu instid0(SALU_CYCLE_1)
	s_or_b32 exec_lo, exec_lo, s7
	s_mov_b32 s1, 0
                                        ; implicit-def: $vgpr10
.LBB4_294:                              ;   in Loop: Header=BB4_280 Depth=1
	s_or_saveexec_b32 s0, s6
	v_mov_b32_e32 v18, s1
	s_xor_b32 exec_lo, exec_lo, s0
	s_cbranch_execz .LBB4_296
; %bb.295:                              ;   in Loop: Header=BB4_280 Depth=1
	flat_load_b64 v[14:15], v[4:5]
	v_add_co_u32 v4, vcc_lo, v4, 8
	v_add_nc_u32_e32 v18, -8, v10
	v_add_co_ci_u32_e32 v5, vcc_lo, 0, v5, vcc_lo
	s_waitcnt vmcnt(0) lgkmcnt(0)
	v_and_b32_e32 v16, 0xff, v15
	v_and_b32_e32 v17, 0xff00, v15
	;; [unrolled: 1-line block ×4, first 2 shown]
	v_or3_b32 v14, v14, 0, 0
	s_delay_alu instid0(VALU_DEP_4) | instskip(NEXT) | instid1(VALU_DEP_1)
	v_or_b32_e32 v16, v16, v17
	v_or3_b32 v15, v16, v19, v15
.LBB4_296:                              ;   in Loop: Header=BB4_280 Depth=1
	s_or_b32 exec_lo, exec_lo, s0
                                        ; implicit-def: $sgpr1
	s_delay_alu instid0(SALU_CYCLE_1)
	s_mov_b32 s0, exec_lo
	v_cmpx_gt_u32_e32 8, v18
	s_xor_b32 s6, exec_lo, s0
	s_cbranch_execz .LBB4_302
; %bb.297:                              ;   in Loop: Header=BB4_280 Depth=1
	v_mov_b32_e32 v16, 0
	v_mov_b32_e32 v17, 0
	s_mov_b32 s7, exec_lo
	v_cmpx_ne_u32_e32 0, v18
	s_cbranch_execz .LBB4_301
; %bb.298:                              ;   in Loop: Header=BB4_280 Depth=1
	v_mov_b32_e32 v16, 0
	v_mov_b32_e32 v17, 0
	s_mov_b64 s[0:1], 0
	s_mov_b32 s13, 0
	s_mov_b64 s[4:5], 0
	.p2align	6
.LBB4_299:                              ;   Parent Loop BB4_280 Depth=1
                                        ; =>  This Inner Loop Header: Depth=2
	s_delay_alu instid0(SALU_CYCLE_1)
	v_add_co_u32 v19, vcc_lo, v4, s4
	v_add_co_ci_u32_e32 v20, vcc_lo, s5, v5, vcc_lo
	s_add_u32 s4, s4, 1
	s_addc_u32 s5, s5, 0
	v_cmp_eq_u32_e32 vcc_lo, s4, v18
	flat_load_u8 v10, v[19:20]
	s_waitcnt vmcnt(0) lgkmcnt(0)
	v_dual_mov_b32 v20, s12 :: v_dual_and_b32 v19, 0xffff, v10
	s_delay_alu instid0(VALU_DEP_1) | instskip(SKIP_3) | instid1(VALU_DEP_1)
	v_lshlrev_b64 v[19:20], s0, v[19:20]
	s_add_u32 s0, s0, 8
	s_addc_u32 s1, s1, 0
	s_or_b32 s13, vcc_lo, s13
	v_or_b32_e32 v17, v20, v17
	s_delay_alu instid0(VALU_DEP_2)
	v_or_b32_e32 v16, v19, v16
	s_and_not1_b32 exec_lo, exec_lo, s13
	s_cbranch_execnz .LBB4_299
; %bb.300:                              ;   in Loop: Header=BB4_280 Depth=1
	s_or_b32 exec_lo, exec_lo, s13
.LBB4_301:                              ;   in Loop: Header=BB4_280 Depth=1
	s_delay_alu instid0(SALU_CYCLE_1)
	s_or_b32 exec_lo, exec_lo, s7
	s_mov_b32 s1, 0
                                        ; implicit-def: $vgpr18
.LBB4_302:                              ;   in Loop: Header=BB4_280 Depth=1
	s_or_saveexec_b32 s0, s6
	v_mov_b32_e32 v10, s1
	s_xor_b32 exec_lo, exec_lo, s0
	s_cbranch_execz .LBB4_304
; %bb.303:                              ;   in Loop: Header=BB4_280 Depth=1
	flat_load_b64 v[16:17], v[4:5]
	v_add_co_u32 v4, vcc_lo, v4, 8
	v_add_co_ci_u32_e32 v5, vcc_lo, 0, v5, vcc_lo
	s_waitcnt vmcnt(0) lgkmcnt(0)
	v_and_b32_e32 v10, 0xff, v17
	v_and_b32_e32 v19, 0xff00, v17
	;; [unrolled: 1-line block ×4, first 2 shown]
	v_or3_b32 v16, v16, 0, 0
	s_delay_alu instid0(VALU_DEP_4) | instskip(SKIP_1) | instid1(VALU_DEP_2)
	v_or_b32_e32 v19, v10, v19
	v_add_nc_u32_e32 v10, -8, v18
	v_or3_b32 v17, v19, v20, v17
.LBB4_304:                              ;   in Loop: Header=BB4_280 Depth=1
	s_or_b32 exec_lo, exec_lo, s0
                                        ; implicit-def: $vgpr18_vgpr19
                                        ; implicit-def: $sgpr1
	s_delay_alu instid0(SALU_CYCLE_1) | instskip(NEXT) | instid1(VALU_DEP_1)
	s_mov_b32 s0, exec_lo
	v_cmpx_gt_u32_e32 8, v10
	s_xor_b32 s6, exec_lo, s0
	s_cbranch_execz .LBB4_310
; %bb.305:                              ;   in Loop: Header=BB4_280 Depth=1
	v_mov_b32_e32 v18, 0
	v_mov_b32_e32 v19, 0
	s_mov_b32 s7, exec_lo
	v_cmpx_ne_u32_e32 0, v10
	s_cbranch_execz .LBB4_309
; %bb.306:                              ;   in Loop: Header=BB4_280 Depth=1
	v_mov_b32_e32 v18, 0
	v_mov_b32_e32 v19, 0
	s_mov_b64 s[0:1], 0
	s_mov_b32 s13, 0
	s_mov_b64 s[4:5], 0
	.p2align	6
.LBB4_307:                              ;   Parent Loop BB4_280 Depth=1
                                        ; =>  This Inner Loop Header: Depth=2
	s_delay_alu instid0(SALU_CYCLE_1)
	v_add_co_u32 v20, vcc_lo, v4, s4
	v_add_co_ci_u32_e32 v21, vcc_lo, s5, v5, vcc_lo
	s_add_u32 s4, s4, 1
	s_addc_u32 s5, s5, 0
	v_cmp_eq_u32_e32 vcc_lo, s4, v10
	flat_load_u8 v20, v[20:21]
	s_waitcnt vmcnt(0) lgkmcnt(0)
	v_dual_mov_b32 v21, s12 :: v_dual_and_b32 v20, 0xffff, v20
	s_delay_alu instid0(VALU_DEP_1) | instskip(SKIP_3) | instid1(VALU_DEP_1)
	v_lshlrev_b64 v[20:21], s0, v[20:21]
	s_add_u32 s0, s0, 8
	s_addc_u32 s1, s1, 0
	s_or_b32 s13, vcc_lo, s13
	v_or_b32_e32 v19, v21, v19
	s_delay_alu instid0(VALU_DEP_2)
	v_or_b32_e32 v18, v20, v18
	s_and_not1_b32 exec_lo, exec_lo, s13
	s_cbranch_execnz .LBB4_307
; %bb.308:                              ;   in Loop: Header=BB4_280 Depth=1
	s_or_b32 exec_lo, exec_lo, s13
.LBB4_309:                              ;   in Loop: Header=BB4_280 Depth=1
	s_delay_alu instid0(SALU_CYCLE_1)
	s_or_b32 exec_lo, exec_lo, s7
	s_mov_b32 s1, 0
                                        ; implicit-def: $vgpr10
.LBB4_310:                              ;   in Loop: Header=BB4_280 Depth=1
	s_or_saveexec_b32 s0, s6
	v_mov_b32_e32 v22, s1
	s_xor_b32 exec_lo, exec_lo, s0
	s_cbranch_execz .LBB4_312
; %bb.311:                              ;   in Loop: Header=BB4_280 Depth=1
	flat_load_b64 v[18:19], v[4:5]
	v_add_co_u32 v4, vcc_lo, v4, 8
	v_add_nc_u32_e32 v22, -8, v10
	v_add_co_ci_u32_e32 v5, vcc_lo, 0, v5, vcc_lo
	s_waitcnt vmcnt(0) lgkmcnt(0)
	v_and_b32_e32 v20, 0xff, v19
	v_and_b32_e32 v21, 0xff00, v19
	;; [unrolled: 1-line block ×4, first 2 shown]
	v_or3_b32 v18, v18, 0, 0
	s_delay_alu instid0(VALU_DEP_4) | instskip(NEXT) | instid1(VALU_DEP_1)
	v_or_b32_e32 v20, v20, v21
	v_or3_b32 v19, v20, v23, v19
.LBB4_312:                              ;   in Loop: Header=BB4_280 Depth=1
	s_or_b32 exec_lo, exec_lo, s0
                                        ; implicit-def: $sgpr1
	s_delay_alu instid0(SALU_CYCLE_1)
	s_mov_b32 s0, exec_lo
	v_cmpx_gt_u32_e32 8, v22
	s_xor_b32 s6, exec_lo, s0
	s_cbranch_execz .LBB4_318
; %bb.313:                              ;   in Loop: Header=BB4_280 Depth=1
	v_mov_b32_e32 v20, 0
	v_mov_b32_e32 v21, 0
	s_mov_b32 s7, exec_lo
	v_cmpx_ne_u32_e32 0, v22
	s_cbranch_execz .LBB4_317
; %bb.314:                              ;   in Loop: Header=BB4_280 Depth=1
	v_mov_b32_e32 v20, 0
	v_mov_b32_e32 v21, 0
	s_mov_b64 s[0:1], 0
	s_mov_b32 s13, 0
	s_mov_b64 s[4:5], 0
	.p2align	6
.LBB4_315:                              ;   Parent Loop BB4_280 Depth=1
                                        ; =>  This Inner Loop Header: Depth=2
	s_delay_alu instid0(SALU_CYCLE_1)
	v_add_co_u32 v23, vcc_lo, v4, s4
	v_add_co_ci_u32_e32 v24, vcc_lo, s5, v5, vcc_lo
	s_add_u32 s4, s4, 1
	s_addc_u32 s5, s5, 0
	v_cmp_eq_u32_e32 vcc_lo, s4, v22
	flat_load_u8 v10, v[23:24]
	s_waitcnt vmcnt(0) lgkmcnt(0)
	v_dual_mov_b32 v24, s12 :: v_dual_and_b32 v23, 0xffff, v10
	s_delay_alu instid0(VALU_DEP_1) | instskip(SKIP_3) | instid1(VALU_DEP_1)
	v_lshlrev_b64 v[23:24], s0, v[23:24]
	s_add_u32 s0, s0, 8
	s_addc_u32 s1, s1, 0
	s_or_b32 s13, vcc_lo, s13
	v_or_b32_e32 v21, v24, v21
	s_delay_alu instid0(VALU_DEP_2)
	v_or_b32_e32 v20, v23, v20
	s_and_not1_b32 exec_lo, exec_lo, s13
	s_cbranch_execnz .LBB4_315
; %bb.316:                              ;   in Loop: Header=BB4_280 Depth=1
	s_or_b32 exec_lo, exec_lo, s13
.LBB4_317:                              ;   in Loop: Header=BB4_280 Depth=1
	s_delay_alu instid0(SALU_CYCLE_1)
	s_or_b32 exec_lo, exec_lo, s7
	s_mov_b32 s1, 0
                                        ; implicit-def: $vgpr22
.LBB4_318:                              ;   in Loop: Header=BB4_280 Depth=1
	s_or_saveexec_b32 s0, s6
	v_mov_b32_e32 v10, s1
	s_xor_b32 exec_lo, exec_lo, s0
	s_cbranch_execz .LBB4_320
; %bb.319:                              ;   in Loop: Header=BB4_280 Depth=1
	flat_load_b64 v[20:21], v[4:5]
	v_add_co_u32 v4, vcc_lo, v4, 8
	v_add_co_ci_u32_e32 v5, vcc_lo, 0, v5, vcc_lo
	s_waitcnt vmcnt(0) lgkmcnt(0)
	v_and_b32_e32 v10, 0xff, v21
	v_and_b32_e32 v23, 0xff00, v21
	;; [unrolled: 1-line block ×4, first 2 shown]
	v_or3_b32 v20, v20, 0, 0
	s_delay_alu instid0(VALU_DEP_4) | instskip(SKIP_1) | instid1(VALU_DEP_2)
	v_or_b32_e32 v23, v10, v23
	v_add_nc_u32_e32 v10, -8, v22
	v_or3_b32 v21, v23, v24, v21
.LBB4_320:                              ;   in Loop: Header=BB4_280 Depth=1
	s_or_b32 exec_lo, exec_lo, s0
                                        ; implicit-def: $vgpr22_vgpr23
                                        ; implicit-def: $sgpr1
	s_delay_alu instid0(SALU_CYCLE_1) | instskip(NEXT) | instid1(VALU_DEP_1)
	s_mov_b32 s0, exec_lo
	v_cmpx_gt_u32_e32 8, v10
	s_xor_b32 s6, exec_lo, s0
	s_cbranch_execz .LBB4_326
; %bb.321:                              ;   in Loop: Header=BB4_280 Depth=1
	v_mov_b32_e32 v22, 0
	v_mov_b32_e32 v23, 0
	s_mov_b32 s7, exec_lo
	v_cmpx_ne_u32_e32 0, v10
	s_cbranch_execz .LBB4_325
; %bb.322:                              ;   in Loop: Header=BB4_280 Depth=1
	v_mov_b32_e32 v22, 0
	v_mov_b32_e32 v23, 0
	s_mov_b64 s[0:1], 0
	s_mov_b32 s13, 0
	s_mov_b64 s[4:5], 0
	.p2align	6
.LBB4_323:                              ;   Parent Loop BB4_280 Depth=1
                                        ; =>  This Inner Loop Header: Depth=2
	s_delay_alu instid0(SALU_CYCLE_1)
	v_add_co_u32 v24, vcc_lo, v4, s4
	v_add_co_ci_u32_e32 v25, vcc_lo, s5, v5, vcc_lo
	s_add_u32 s4, s4, 1
	s_addc_u32 s5, s5, 0
	v_cmp_eq_u32_e32 vcc_lo, s4, v10
	flat_load_u8 v24, v[24:25]
	s_waitcnt vmcnt(0) lgkmcnt(0)
	v_dual_mov_b32 v25, s12 :: v_dual_and_b32 v24, 0xffff, v24
	s_delay_alu instid0(VALU_DEP_1) | instskip(SKIP_3) | instid1(VALU_DEP_1)
	v_lshlrev_b64 v[24:25], s0, v[24:25]
	s_add_u32 s0, s0, 8
	s_addc_u32 s1, s1, 0
	s_or_b32 s13, vcc_lo, s13
	v_or_b32_e32 v23, v25, v23
	s_delay_alu instid0(VALU_DEP_2)
	v_or_b32_e32 v22, v24, v22
	s_and_not1_b32 exec_lo, exec_lo, s13
	s_cbranch_execnz .LBB4_323
; %bb.324:                              ;   in Loop: Header=BB4_280 Depth=1
	s_or_b32 exec_lo, exec_lo, s13
.LBB4_325:                              ;   in Loop: Header=BB4_280 Depth=1
	s_delay_alu instid0(SALU_CYCLE_1)
	s_or_b32 exec_lo, exec_lo, s7
	s_mov_b32 s1, 0
                                        ; implicit-def: $vgpr10
.LBB4_326:                              ;   in Loop: Header=BB4_280 Depth=1
	s_or_saveexec_b32 s0, s6
	v_mov_b32_e32 v26, s1
	s_xor_b32 exec_lo, exec_lo, s0
	s_cbranch_execz .LBB4_328
; %bb.327:                              ;   in Loop: Header=BB4_280 Depth=1
	flat_load_b64 v[22:23], v[4:5]
	v_add_co_u32 v4, vcc_lo, v4, 8
	v_add_nc_u32_e32 v26, -8, v10
	v_add_co_ci_u32_e32 v5, vcc_lo, 0, v5, vcc_lo
	s_waitcnt vmcnt(0) lgkmcnt(0)
	v_and_b32_e32 v24, 0xff, v23
	v_and_b32_e32 v25, 0xff00, v23
	;; [unrolled: 1-line block ×4, first 2 shown]
	v_or3_b32 v22, v22, 0, 0
	s_delay_alu instid0(VALU_DEP_4) | instskip(NEXT) | instid1(VALU_DEP_1)
	v_or_b32_e32 v24, v24, v25
	v_or3_b32 v23, v24, v27, v23
.LBB4_328:                              ;   in Loop: Header=BB4_280 Depth=1
	s_or_b32 exec_lo, exec_lo, s0
	s_delay_alu instid0(SALU_CYCLE_1)
	s_mov_b32 s0, exec_lo
	v_cmpx_gt_u32_e32 8, v26
	s_xor_b32 s4, exec_lo, s0
	s_cbranch_execz .LBB4_334
; %bb.329:                              ;   in Loop: Header=BB4_280 Depth=1
	v_mov_b32_e32 v24, 0
	v_mov_b32_e32 v25, 0
	s_mov_b32 s5, exec_lo
	v_cmpx_ne_u32_e32 0, v26
	s_cbranch_execz .LBB4_333
; %bb.330:                              ;   in Loop: Header=BB4_280 Depth=1
	v_mov_b32_e32 v24, 0
	v_mov_b32_e32 v25, 0
	s_mov_b64 s[0:1], 0
	s_mov_b32 s6, 0
	.p2align	6
.LBB4_331:                              ;   Parent Loop BB4_280 Depth=1
                                        ; =>  This Inner Loop Header: Depth=2
	flat_load_u8 v10, v[4:5]
	v_mov_b32_e32 v28, s12
	v_add_nc_u32_e32 v26, -1, v26
	v_add_co_u32 v4, vcc_lo, v4, 1
	v_add_co_ci_u32_e32 v5, vcc_lo, 0, v5, vcc_lo
	s_delay_alu instid0(VALU_DEP_3) | instskip(SKIP_2) | instid1(VALU_DEP_1)
	v_cmp_eq_u32_e32 vcc_lo, 0, v26
	s_waitcnt vmcnt(0) lgkmcnt(0)
	v_and_b32_e32 v27, 0xffff, v10
	v_lshlrev_b64 v[27:28], s0, v[27:28]
	s_add_u32 s0, s0, 8
	s_addc_u32 s1, s1, 0
	s_or_b32 s6, vcc_lo, s6
	s_delay_alu instid0(VALU_DEP_1) | instskip(NEXT) | instid1(VALU_DEP_2)
	v_or_b32_e32 v25, v28, v25
	v_or_b32_e32 v24, v27, v24
	s_and_not1_b32 exec_lo, exec_lo, s6
	s_cbranch_execnz .LBB4_331
; %bb.332:                              ;   in Loop: Header=BB4_280 Depth=1
	s_or_b32 exec_lo, exec_lo, s6
.LBB4_333:                              ;   in Loop: Header=BB4_280 Depth=1
	s_delay_alu instid0(SALU_CYCLE_1)
	s_or_b32 exec_lo, exec_lo, s5
                                        ; implicit-def: $vgpr4_vgpr5
.LBB4_334:                              ;   in Loop: Header=BB4_280 Depth=1
	s_and_not1_saveexec_b32 s0, s4
	s_cbranch_execz .LBB4_336
; %bb.335:                              ;   in Loop: Header=BB4_280 Depth=1
	flat_load_b64 v[4:5], v[4:5]
	s_waitcnt vmcnt(0) lgkmcnt(0)
	v_and_b32_e32 v10, 0xff, v5
	v_and_b32_e32 v24, 0xff00, v5
	;; [unrolled: 1-line block ×4, first 2 shown]
	s_delay_alu instid0(VALU_DEP_3) | instskip(SKIP_1) | instid1(VALU_DEP_2)
	v_or_b32_e32 v10, v10, v24
	v_or3_b32 v24, v4, 0, 0
	v_or3_b32 v25, v10, v25, v5
.LBB4_336:                              ;   in Loop: Header=BB4_280 Depth=1
	s_or_b32 exec_lo, exec_lo, s0
	v_readfirstlane_b32 s0, v48
	v_mov_b32_e32 v4, 0
	v_mov_b32_e32 v5, 0
	s_delay_alu instid0(VALU_DEP_3) | instskip(NEXT) | instid1(VALU_DEP_1)
	v_cmp_eq_u32_e64 s0, s0, v48
	s_and_saveexec_b32 s1, s0
	s_cbranch_execz .LBB4_342
; %bb.337:                              ;   in Loop: Header=BB4_280 Depth=1
	global_load_b64 v[28:29], v11, s[2:3] offset:24 glc
	s_waitcnt vmcnt(0)
	buffer_gl1_inv
	buffer_gl0_inv
	s_clause 0x1
	global_load_b64 v[4:5], v11, s[2:3] offset:40
	global_load_b64 v[26:27], v11, s[2:3]
	s_mov_b32 s4, exec_lo
	s_waitcnt vmcnt(1)
	v_and_b32_e32 v5, v5, v29
	v_and_b32_e32 v4, v4, v28
	s_delay_alu instid0(VALU_DEP_2) | instskip(NEXT) | instid1(VALU_DEP_2)
	v_mul_lo_u32 v5, v5, 24
	v_mul_hi_u32 v10, v4, 24
	v_mul_lo_u32 v4, v4, 24
	s_delay_alu instid0(VALU_DEP_2) | instskip(SKIP_1) | instid1(VALU_DEP_2)
	v_add_nc_u32_e32 v5, v10, v5
	s_waitcnt vmcnt(0)
	v_add_co_u32 v4, vcc_lo, v26, v4
	s_delay_alu instid0(VALU_DEP_2)
	v_add_co_ci_u32_e32 v5, vcc_lo, v27, v5, vcc_lo
	global_load_b64 v[26:27], v[4:5], off glc
	s_waitcnt vmcnt(0)
	global_atomic_cmpswap_b64 v[4:5], v11, v[26:29], s[2:3] offset:24 glc
	s_waitcnt vmcnt(0)
	buffer_gl1_inv
	buffer_gl0_inv
	v_cmpx_ne_u64_e64 v[4:5], v[28:29]
	s_cbranch_execz .LBB4_341
; %bb.338:                              ;   in Loop: Header=BB4_280 Depth=1
	s_mov_b32 s5, 0
	.p2align	6
.LBB4_339:                              ;   Parent Loop BB4_280 Depth=1
                                        ; =>  This Inner Loop Header: Depth=2
	s_sleep 1
	s_clause 0x1
	global_load_b64 v[26:27], v11, s[2:3] offset:40
	global_load_b64 v[35:36], v11, s[2:3]
	v_dual_mov_b32 v29, v5 :: v_dual_mov_b32 v28, v4
	s_waitcnt vmcnt(1)
	s_delay_alu instid0(VALU_DEP_1) | instskip(SKIP_1) | instid1(VALU_DEP_1)
	v_and_b32_e32 v10, v26, v28
	s_waitcnt vmcnt(0)
	v_mad_u64_u32 v[4:5], null, v10, 24, v[35:36]
	v_and_b32_e32 v10, v27, v29
	s_delay_alu instid0(VALU_DEP_1) | instskip(NEXT) | instid1(VALU_DEP_1)
	v_mad_u64_u32 v[26:27], null, v10, 24, v[5:6]
	v_mov_b32_e32 v5, v26
	global_load_b64 v[26:27], v[4:5], off glc
	s_waitcnt vmcnt(0)
	global_atomic_cmpswap_b64 v[4:5], v11, v[26:29], s[2:3] offset:24 glc
	s_waitcnt vmcnt(0)
	buffer_gl1_inv
	buffer_gl0_inv
	v_cmp_eq_u64_e32 vcc_lo, v[4:5], v[28:29]
	s_or_b32 s5, vcc_lo, s5
	s_delay_alu instid0(SALU_CYCLE_1)
	s_and_not1_b32 exec_lo, exec_lo, s5
	s_cbranch_execnz .LBB4_339
; %bb.340:                              ;   in Loop: Header=BB4_280 Depth=1
	s_or_b32 exec_lo, exec_lo, s5
.LBB4_341:                              ;   in Loop: Header=BB4_280 Depth=1
	s_delay_alu instid0(SALU_CYCLE_1)
	s_or_b32 exec_lo, exec_lo, s4
.LBB4_342:                              ;   in Loop: Header=BB4_280 Depth=1
	s_delay_alu instid0(SALU_CYCLE_1)
	s_or_b32 exec_lo, exec_lo, s1
	s_clause 0x1
	global_load_b64 v[35:36], v11, s[2:3] offset:40
	global_load_b128 v[26:29], v11, s[2:3]
	v_readfirstlane_b32 s4, v4
	v_readfirstlane_b32 s5, v5
	s_mov_b32 s1, exec_lo
	s_waitcnt vmcnt(1)
	v_readfirstlane_b32 s6, v35
	v_readfirstlane_b32 s7, v36
	s_delay_alu instid0(VALU_DEP_1) | instskip(NEXT) | instid1(SALU_CYCLE_1)
	s_and_b64 s[6:7], s[4:5], s[6:7]
	s_mul_i32 s13, s7, 24
	s_mul_hi_u32 s14, s6, 24
	s_mul_i32 s15, s6, 24
	s_add_i32 s14, s14, s13
	s_waitcnt vmcnt(0)
	v_add_co_u32 v4, vcc_lo, v26, s15
	v_add_co_ci_u32_e32 v5, vcc_lo, s14, v27, vcc_lo
	s_and_saveexec_b32 s13, s0
	s_cbranch_execz .LBB4_344
; %bb.343:                              ;   in Loop: Header=BB4_280 Depth=1
	v_mov_b32_e32 v10, s1
	global_store_b128 v[4:5], v[10:13], off offset:8
.LBB4_344:                              ;   in Loop: Header=BB4_280 Depth=1
	s_or_b32 exec_lo, exec_lo, s13
	v_cmp_lt_u64_e32 vcc_lo, 56, v[30:31]
	v_or_b32_e32 v10, 0, v1
	v_or_b32_e32 v35, v0, v34
	v_lshl_add_u32 v36, v32, 2, 28
	s_lshl_b64 s[6:7], s[6:7], 12
	s_delay_alu instid0(SALU_CYCLE_1) | instskip(NEXT) | instid1(VALU_DEP_1)
	v_add_co_u32 v28, s1, v28, s6
	v_add_co_ci_u32_e64 v29, s1, s7, v29, s1
	v_dual_cndmask_b32 v1, v10, v1 :: v_dual_cndmask_b32 v0, v35, v0
	v_and_b32_e32 v10, 0x1e0, v36
	s_delay_alu instid0(VALU_DEP_4) | instskip(NEXT) | instid1(VALU_DEP_4)
	v_readfirstlane_b32 s6, v28
	v_readfirstlane_b32 s7, v29
	s_delay_alu instid0(VALU_DEP_3)
	v_and_or_b32 v0, 0xffffff1f, v0, v10
	s_clause 0x3
	global_store_b128 v39, v[0:3], s[6:7]
	global_store_b128 v39, v[14:17], s[6:7] offset:16
	global_store_b128 v39, v[18:21], s[6:7] offset:32
	;; [unrolled: 1-line block ×3, first 2 shown]
	s_and_saveexec_b32 s1, s0
	s_cbranch_execz .LBB4_352
; %bb.345:                              ;   in Loop: Header=BB4_280 Depth=1
	s_clause 0x1
	global_load_b64 v[18:19], v11, s[2:3] offset:32 glc
	global_load_b64 v[0:1], v11, s[2:3] offset:40
	v_dual_mov_b32 v16, s4 :: v_dual_mov_b32 v17, s5
	s_waitcnt vmcnt(0)
	v_readfirstlane_b32 s6, v0
	v_readfirstlane_b32 s7, v1
	s_delay_alu instid0(VALU_DEP_1) | instskip(NEXT) | instid1(SALU_CYCLE_1)
	s_and_b64 s[6:7], s[6:7], s[4:5]
	s_mul_i32 s7, s7, 24
	s_mul_hi_u32 s13, s6, 24
	s_mul_i32 s6, s6, 24
	s_add_i32 s13, s13, s7
	v_add_co_u32 v14, vcc_lo, v26, s6
	v_add_co_ci_u32_e32 v15, vcc_lo, s13, v27, vcc_lo
	s_mov_b32 s6, exec_lo
	global_store_b64 v[14:15], v[18:19], off
	s_waitcnt_vscnt null, 0x0
	global_atomic_cmpswap_b64 v[2:3], v11, v[16:19], s[2:3] offset:32 glc
	s_waitcnt vmcnt(0)
	v_cmpx_ne_u64_e64 v[2:3], v[18:19]
	s_cbranch_execz .LBB4_348
; %bb.346:                              ;   in Loop: Header=BB4_280 Depth=1
	s_mov_b32 s7, 0
.LBB4_347:                              ;   Parent Loop BB4_280 Depth=1
                                        ; =>  This Inner Loop Header: Depth=2
	v_dual_mov_b32 v0, s4 :: v_dual_mov_b32 v1, s5
	s_sleep 1
	global_store_b64 v[14:15], v[2:3], off
	s_waitcnt_vscnt null, 0x0
	global_atomic_cmpswap_b64 v[0:1], v11, v[0:3], s[2:3] offset:32 glc
	s_waitcnt vmcnt(0)
	v_cmp_eq_u64_e32 vcc_lo, v[0:1], v[2:3]
	v_dual_mov_b32 v3, v1 :: v_dual_mov_b32 v2, v0
	s_or_b32 s7, vcc_lo, s7
	s_delay_alu instid0(SALU_CYCLE_1)
	s_and_not1_b32 exec_lo, exec_lo, s7
	s_cbranch_execnz .LBB4_347
.LBB4_348:                              ;   in Loop: Header=BB4_280 Depth=1
	s_or_b32 exec_lo, exec_lo, s6
	global_load_b64 v[0:1], v11, s[2:3] offset:16
	s_mov_b32 s7, exec_lo
	s_mov_b32 s6, exec_lo
	v_mbcnt_lo_u32_b32 v2, s7, 0
	s_delay_alu instid0(VALU_DEP_1)
	v_cmpx_eq_u32_e32 0, v2
	s_cbranch_execz .LBB4_350
; %bb.349:                              ;   in Loop: Header=BB4_280 Depth=1
	s_bcnt1_i32_b32 s7, s7
	s_delay_alu instid0(SALU_CYCLE_1)
	v_mov_b32_e32 v10, s7
	s_waitcnt vmcnt(0)
	global_atomic_add_u64 v[0:1], v[10:11], off offset:8
.LBB4_350:                              ;   in Loop: Header=BB4_280 Depth=1
	s_or_b32 exec_lo, exec_lo, s6
	s_waitcnt vmcnt(0)
	global_load_b64 v[2:3], v[0:1], off offset:16
	s_waitcnt vmcnt(0)
	v_cmp_eq_u64_e32 vcc_lo, 0, v[2:3]
	s_cbranch_vccnz .LBB4_352
; %bb.351:                              ;   in Loop: Header=BB4_280 Depth=1
	global_load_b32 v10, v[0:1], off offset:24
	s_waitcnt vmcnt(0)
	v_and_b32_e32 v0, 0xffffff, v10
	s_waitcnt_vscnt null, 0x0
	global_store_b64 v[2:3], v[10:11], off
	v_readfirstlane_b32 m0, v0
	s_sendmsg sendmsg(MSG_INTERRUPT)
.LBB4_352:                              ;   in Loop: Header=BB4_280 Depth=1
	s_or_b32 exec_lo, exec_lo, s1
	v_add_co_u32 v0, vcc_lo, v28, v39
	v_add_co_ci_u32_e32 v1, vcc_lo, 0, v29, vcc_lo
	s_branch .LBB4_356
	.p2align	6
.LBB4_353:                              ;   in Loop: Header=BB4_356 Depth=2
	s_or_b32 exec_lo, exec_lo, s1
	s_delay_alu instid0(VALU_DEP_1) | instskip(NEXT) | instid1(VALU_DEP_1)
	v_readfirstlane_b32 s1, v2
	s_cmp_eq_u32 s1, 0
	s_cbranch_scc1 .LBB4_355
; %bb.354:                              ;   in Loop: Header=BB4_356 Depth=2
	s_sleep 1
	s_cbranch_execnz .LBB4_356
	s_branch .LBB4_358
	.p2align	6
.LBB4_355:                              ;   in Loop: Header=BB4_280 Depth=1
	s_branch .LBB4_358
.LBB4_356:                              ;   Parent Loop BB4_280 Depth=1
                                        ; =>  This Inner Loop Header: Depth=2
	v_mov_b32_e32 v2, 1
	s_and_saveexec_b32 s1, s0
	s_cbranch_execz .LBB4_353
; %bb.357:                              ;   in Loop: Header=BB4_356 Depth=2
	global_load_b32 v2, v[4:5], off offset:20 glc
	s_waitcnt vmcnt(0)
	buffer_gl1_inv
	buffer_gl0_inv
	v_and_b32_e32 v2, 1, v2
	s_branch .LBB4_353
.LBB4_358:                              ;   in Loop: Header=BB4_280 Depth=1
	global_load_b128 v[0:3], v[0:1], off
	s_and_saveexec_b32 s1, s0
	s_cbranch_execz .LBB4_279
; %bb.359:                              ;   in Loop: Header=BB4_280 Depth=1
	s_clause 0x2
	global_load_b64 v[4:5], v11, s[2:3] offset:40
	global_load_b64 v[16:17], v11, s[2:3] offset:24 glc
	global_load_b64 v[14:15], v11, s[2:3]
	s_waitcnt vmcnt(2)
	v_add_co_u32 v10, vcc_lo, v4, 1
	v_add_co_ci_u32_e32 v18, vcc_lo, 0, v5, vcc_lo
	s_delay_alu instid0(VALU_DEP_2) | instskip(NEXT) | instid1(VALU_DEP_2)
	v_add_co_u32 v2, vcc_lo, v10, s4
	v_add_co_ci_u32_e32 v3, vcc_lo, s5, v18, vcc_lo
	s_delay_alu instid0(VALU_DEP_1) | instskip(SKIP_1) | instid1(VALU_DEP_1)
	v_cmp_eq_u64_e32 vcc_lo, 0, v[2:3]
	v_cndmask_b32_e32 v2, v2, v10, vcc_lo
	v_dual_cndmask_b32 v3, v3, v18 :: v_dual_and_b32 v4, v2, v4
	s_delay_alu instid0(VALU_DEP_1) | instskip(NEXT) | instid1(VALU_DEP_2)
	v_and_b32_e32 v5, v3, v5
	v_mul_hi_u32 v10, v4, 24
	s_delay_alu instid0(VALU_DEP_2) | instskip(SKIP_1) | instid1(VALU_DEP_2)
	v_mul_lo_u32 v5, v5, 24
	v_mul_lo_u32 v4, v4, 24
	v_add_nc_u32_e32 v5, v10, v5
	s_waitcnt vmcnt(0)
	s_delay_alu instid0(VALU_DEP_2) | instskip(SKIP_1) | instid1(VALU_DEP_3)
	v_add_co_u32 v14, vcc_lo, v14, v4
	v_mov_b32_e32 v4, v16
	v_add_co_ci_u32_e32 v15, vcc_lo, v15, v5, vcc_lo
	v_mov_b32_e32 v5, v17
	global_store_b64 v[14:15], v[16:17], off
	s_waitcnt_vscnt null, 0x0
	global_atomic_cmpswap_b64 v[4:5], v11, v[2:5], s[2:3] offset:24 glc
	s_waitcnt vmcnt(0)
	v_cmp_ne_u64_e32 vcc_lo, v[4:5], v[16:17]
	s_and_b32 exec_lo, exec_lo, vcc_lo
	s_cbranch_execz .LBB4_279
; %bb.360:                              ;   in Loop: Header=BB4_280 Depth=1
	s_mov_b32 s0, 0
.LBB4_361:                              ;   Parent Loop BB4_280 Depth=1
                                        ; =>  This Inner Loop Header: Depth=2
	s_sleep 1
	global_store_b64 v[14:15], v[4:5], off
	s_waitcnt_vscnt null, 0x0
	global_atomic_cmpswap_b64 v[16:17], v11, v[2:5], s[2:3] offset:24 glc
	s_waitcnt vmcnt(0)
	v_cmp_eq_u64_e32 vcc_lo, v[16:17], v[4:5]
	v_dual_mov_b32 v4, v16 :: v_dual_mov_b32 v5, v17
	s_or_b32 s0, vcc_lo, s0
	s_delay_alu instid0(SALU_CYCLE_1)
	s_and_not1_b32 exec_lo, exec_lo, s0
	s_cbranch_execnz .LBB4_361
	s_branch .LBB4_279
.LBB4_362:
	s_or_b32 exec_lo, exec_lo, s11
                                        ; implicit-def: $vgpr39
                                        ; implicit-def: $vgpr48
.LBB4_363:
	s_and_not1_saveexec_b32 s1, s10
	s_cbranch_execz .LBB4_391
; %bb.364:
	v_readfirstlane_b32 s0, v48
	v_mov_b32_e32 v10, 0
	v_mov_b32_e32 v11, 0
	s_delay_alu instid0(VALU_DEP_3) | instskip(NEXT) | instid1(VALU_DEP_1)
	v_cmp_eq_u32_e64 s0, s0, v48
	s_and_saveexec_b32 s4, s0
	s_cbranch_execz .LBB4_370
; %bb.365:
	s_waitcnt vmcnt(0)
	v_mov_b32_e32 v2, 0
	s_mov_b32 s5, exec_lo
	global_load_b64 v[5:6], v2, s[2:3] offset:24 glc
	s_waitcnt vmcnt(0)
	buffer_gl1_inv
	buffer_gl0_inv
	s_clause 0x1
	global_load_b64 v[3:4], v2, s[2:3] offset:40
	global_load_b64 v[10:11], v2, s[2:3]
	s_waitcnt vmcnt(1)
	v_and_b32_e32 v3, v3, v5
	v_and_b32_e32 v4, v4, v6
	s_delay_alu instid0(VALU_DEP_2) | instskip(NEXT) | instid1(VALU_DEP_2)
	v_mul_hi_u32 v7, v3, 24
	v_mul_lo_u32 v4, v4, 24
	v_mul_lo_u32 v3, v3, 24
	s_delay_alu instid0(VALU_DEP_2) | instskip(SKIP_1) | instid1(VALU_DEP_2)
	v_add_nc_u32_e32 v4, v7, v4
	s_waitcnt vmcnt(0)
	v_add_co_u32 v3, vcc_lo, v10, v3
	s_delay_alu instid0(VALU_DEP_2)
	v_add_co_ci_u32_e32 v4, vcc_lo, v11, v4, vcc_lo
	global_load_b64 v[3:4], v[3:4], off glc
	s_waitcnt vmcnt(0)
	global_atomic_cmpswap_b64 v[10:11], v2, v[3:6], s[2:3] offset:24 glc
	s_waitcnt vmcnt(0)
	buffer_gl1_inv
	buffer_gl0_inv
	v_cmpx_ne_u64_e64 v[10:11], v[5:6]
	s_cbranch_execz .LBB4_369
; %bb.366:
	s_mov_b32 s6, 0
	.p2align	6
.LBB4_367:                              ; =>This Inner Loop Header: Depth=1
	s_sleep 1
	s_clause 0x1
	global_load_b64 v[3:4], v2, s[2:3] offset:40
	global_load_b64 v[12:13], v2, s[2:3]
	v_dual_mov_b32 v5, v10 :: v_dual_mov_b32 v6, v11
	s_waitcnt vmcnt(1)
	s_delay_alu instid0(VALU_DEP_1) | instskip(SKIP_1) | instid1(VALU_DEP_1)
	v_and_b32_e32 v3, v3, v5
	s_waitcnt vmcnt(0)
	v_mad_u64_u32 v[10:11], null, v3, 24, v[12:13]
	s_delay_alu instid0(VALU_DEP_1) | instskip(NEXT) | instid1(VALU_DEP_1)
	v_dual_mov_b32 v3, v11 :: v_dual_and_b32 v4, v4, v6
	v_mad_u64_u32 v[11:12], null, v4, 24, v[3:4]
	global_load_b64 v[3:4], v[10:11], off glc
	s_waitcnt vmcnt(0)
	global_atomic_cmpswap_b64 v[10:11], v2, v[3:6], s[2:3] offset:24 glc
	s_waitcnt vmcnt(0)
	buffer_gl1_inv
	buffer_gl0_inv
	v_cmp_eq_u64_e32 vcc_lo, v[10:11], v[5:6]
	s_or_b32 s6, vcc_lo, s6
	s_delay_alu instid0(SALU_CYCLE_1)
	s_and_not1_b32 exec_lo, exec_lo, s6
	s_cbranch_execnz .LBB4_367
; %bb.368:
	s_or_b32 exec_lo, exec_lo, s6
.LBB4_369:
	s_delay_alu instid0(SALU_CYCLE_1)
	s_or_b32 exec_lo, exec_lo, s5
.LBB4_370:
	s_delay_alu instid0(SALU_CYCLE_1)
	s_or_b32 exec_lo, exec_lo, s4
	s_waitcnt vmcnt(0)
	v_mov_b32_e32 v2, 0
	v_readfirstlane_b32 s4, v10
	v_readfirstlane_b32 s5, v11
	s_mov_b32 s10, exec_lo
	s_clause 0x1
	global_load_b64 v[12:13], v2, s[2:3] offset:40
	global_load_b128 v[4:7], v2, s[2:3]
	s_waitcnt vmcnt(1)
	v_readfirstlane_b32 s6, v12
	v_readfirstlane_b32 s7, v13
	s_delay_alu instid0(VALU_DEP_1) | instskip(NEXT) | instid1(SALU_CYCLE_1)
	s_and_b64 s[6:7], s[4:5], s[6:7]
	s_mul_i32 s11, s7, 24
	s_mul_hi_u32 s12, s6, 24
	s_mul_i32 s13, s6, 24
	s_add_i32 s12, s12, s11
	s_waitcnt vmcnt(0)
	v_add_co_u32 v10, vcc_lo, v4, s13
	v_add_co_ci_u32_e32 v11, vcc_lo, s12, v5, vcc_lo
	s_and_saveexec_b32 s11, s0
	s_cbranch_execz .LBB4_372
; %bb.371:
	v_dual_mov_b32 v12, s10 :: v_dual_mov_b32 v13, v2
	v_dual_mov_b32 v14, 2 :: v_dual_mov_b32 v15, 1
	global_store_b128 v[10:11], v[12:15], off offset:8
.LBB4_372:
	s_or_b32 exec_lo, exec_lo, s11
	s_lshl_b64 s[6:7], s[6:7], 12
	s_mov_b32 s12, 0
	v_add_co_u32 v6, vcc_lo, v6, s6
	v_add_co_ci_u32_e32 v7, vcc_lo, s7, v7, vcc_lo
	s_mov_b32 s13, s12
	s_delay_alu instid0(VALU_DEP_2)
	v_readfirstlane_b32 s6, v6
	v_add_co_u32 v6, vcc_lo, v6, v39
	s_mov_b32 s14, s12
	s_mov_b32 s15, s12
	v_and_or_b32 v0, 0xffffff1f, v0, 32
	v_dual_mov_b32 v3, v2 :: v_dual_mov_b32 v12, s12
	v_readfirstlane_b32 s7, v7
	v_add_co_ci_u32_e32 v7, vcc_lo, 0, v7, vcc_lo
	v_dual_mov_b32 v13, s13 :: v_dual_mov_b32 v14, s14
	v_mov_b32_e32 v15, s15
	s_clause 0x3
	global_store_b128 v39, v[0:3], s[6:7]
	global_store_b128 v39, v[12:15], s[6:7] offset:16
	global_store_b128 v39, v[12:15], s[6:7] offset:32
	;; [unrolled: 1-line block ×3, first 2 shown]
	s_and_saveexec_b32 s6, s0
	s_cbranch_execz .LBB4_380
; %bb.373:
	v_dual_mov_b32 v12, 0 :: v_dual_mov_b32 v13, s4
	v_mov_b32_e32 v14, s5
	s_clause 0x1
	global_load_b64 v[15:16], v12, s[2:3] offset:32 glc
	global_load_b64 v[0:1], v12, s[2:3] offset:40
	s_waitcnt vmcnt(0)
	v_readfirstlane_b32 s10, v0
	v_readfirstlane_b32 s11, v1
	s_delay_alu instid0(VALU_DEP_1) | instskip(NEXT) | instid1(SALU_CYCLE_1)
	s_and_b64 s[10:11], s[10:11], s[4:5]
	s_mul_i32 s7, s11, 24
	s_mul_hi_u32 s11, s10, 24
	s_mul_i32 s10, s10, 24
	s_add_i32 s11, s11, s7
	v_add_co_u32 v4, vcc_lo, v4, s10
	v_add_co_ci_u32_e32 v5, vcc_lo, s11, v5, vcc_lo
	s_mov_b32 s7, exec_lo
	global_store_b64 v[4:5], v[15:16], off
	s_waitcnt_vscnt null, 0x0
	global_atomic_cmpswap_b64 v[2:3], v12, v[13:16], s[2:3] offset:32 glc
	s_waitcnt vmcnt(0)
	v_cmpx_ne_u64_e64 v[2:3], v[15:16]
	s_cbranch_execz .LBB4_376
; %bb.374:
	s_mov_b32 s10, 0
.LBB4_375:                              ; =>This Inner Loop Header: Depth=1
	v_dual_mov_b32 v0, s4 :: v_dual_mov_b32 v1, s5
	s_sleep 1
	global_store_b64 v[4:5], v[2:3], off
	s_waitcnt_vscnt null, 0x0
	global_atomic_cmpswap_b64 v[0:1], v12, v[0:3], s[2:3] offset:32 glc
	s_waitcnt vmcnt(0)
	v_cmp_eq_u64_e32 vcc_lo, v[0:1], v[2:3]
	v_dual_mov_b32 v3, v1 :: v_dual_mov_b32 v2, v0
	s_or_b32 s10, vcc_lo, s10
	s_delay_alu instid0(SALU_CYCLE_1)
	s_and_not1_b32 exec_lo, exec_lo, s10
	s_cbranch_execnz .LBB4_375
.LBB4_376:
	s_or_b32 exec_lo, exec_lo, s7
	v_mov_b32_e32 v3, 0
	s_mov_b32 s10, exec_lo
	s_mov_b32 s7, exec_lo
	v_mbcnt_lo_u32_b32 v2, s10, 0
	global_load_b64 v[0:1], v3, s[2:3] offset:16
	v_cmpx_eq_u32_e32 0, v2
	s_cbranch_execz .LBB4_378
; %bb.377:
	s_bcnt1_i32_b32 s10, s10
	s_delay_alu instid0(SALU_CYCLE_1)
	v_mov_b32_e32 v2, s10
	s_waitcnt vmcnt(0)
	global_atomic_add_u64 v[0:1], v[2:3], off offset:8
.LBB4_378:
	s_or_b32 exec_lo, exec_lo, s7
	s_waitcnt vmcnt(0)
	global_load_b64 v[2:3], v[0:1], off offset:16
	s_waitcnt vmcnt(0)
	v_cmp_eq_u64_e32 vcc_lo, 0, v[2:3]
	s_cbranch_vccnz .LBB4_380
; %bb.379:
	global_load_b32 v0, v[0:1], off offset:24
	s_waitcnt vmcnt(0)
	v_dual_mov_b32 v1, 0 :: v_dual_and_b32 v4, 0xffffff, v0
	s_waitcnt_vscnt null, 0x0
	global_store_b64 v[2:3], v[0:1], off
	v_readfirstlane_b32 m0, v4
	s_sendmsg sendmsg(MSG_INTERRUPT)
.LBB4_380:
	s_or_b32 exec_lo, exec_lo, s6
	s_branch .LBB4_384
	.p2align	6
.LBB4_381:                              ;   in Loop: Header=BB4_384 Depth=1
	s_or_b32 exec_lo, exec_lo, s6
	s_delay_alu instid0(VALU_DEP_1) | instskip(NEXT) | instid1(VALU_DEP_1)
	v_readfirstlane_b32 s6, v0
	s_cmp_eq_u32 s6, 0
	s_cbranch_scc1 .LBB4_383
; %bb.382:                              ;   in Loop: Header=BB4_384 Depth=1
	s_sleep 1
	s_cbranch_execnz .LBB4_384
	s_branch .LBB4_386
	.p2align	6
.LBB4_383:
	s_branch .LBB4_386
.LBB4_384:                              ; =>This Inner Loop Header: Depth=1
	v_mov_b32_e32 v0, 1
	s_and_saveexec_b32 s6, s0
	s_cbranch_execz .LBB4_381
; %bb.385:                              ;   in Loop: Header=BB4_384 Depth=1
	global_load_b32 v0, v[10:11], off offset:20 glc
	s_waitcnt vmcnt(0)
	buffer_gl1_inv
	buffer_gl0_inv
	v_and_b32_e32 v0, 1, v0
	s_branch .LBB4_381
.LBB4_386:
	global_load_b64 v[0:1], v[6:7], off
	s_and_saveexec_b32 s6, s0
	s_cbranch_execz .LBB4_390
; %bb.387:
	v_mov_b32_e32 v10, 0
	s_clause 0x2
	global_load_b64 v[4:5], v10, s[2:3] offset:40
	global_load_b64 v[11:12], v10, s[2:3] offset:24 glc
	global_load_b64 v[6:7], v10, s[2:3]
	s_waitcnt vmcnt(2)
	v_add_co_u32 v13, vcc_lo, v4, 1
	v_add_co_ci_u32_e32 v14, vcc_lo, 0, v5, vcc_lo
	s_delay_alu instid0(VALU_DEP_2) | instskip(NEXT) | instid1(VALU_DEP_2)
	v_add_co_u32 v2, vcc_lo, v13, s4
	v_add_co_ci_u32_e32 v3, vcc_lo, s5, v14, vcc_lo
	s_delay_alu instid0(VALU_DEP_1) | instskip(SKIP_1) | instid1(VALU_DEP_1)
	v_cmp_eq_u64_e32 vcc_lo, 0, v[2:3]
	v_dual_cndmask_b32 v3, v3, v14 :: v_dual_cndmask_b32 v2, v2, v13
	v_and_b32_e32 v5, v3, v5
	s_delay_alu instid0(VALU_DEP_2) | instskip(NEXT) | instid1(VALU_DEP_2)
	v_and_b32_e32 v4, v2, v4
	v_mul_lo_u32 v5, v5, 24
	s_delay_alu instid0(VALU_DEP_2) | instskip(SKIP_1) | instid1(VALU_DEP_2)
	v_mul_hi_u32 v13, v4, 24
	v_mul_lo_u32 v4, v4, 24
	v_add_nc_u32_e32 v5, v13, v5
	s_waitcnt vmcnt(0)
	s_delay_alu instid0(VALU_DEP_2) | instskip(SKIP_1) | instid1(VALU_DEP_3)
	v_add_co_u32 v6, vcc_lo, v6, v4
	v_mov_b32_e32 v4, v11
	v_add_co_ci_u32_e32 v7, vcc_lo, v7, v5, vcc_lo
	v_mov_b32_e32 v5, v12
	global_store_b64 v[6:7], v[11:12], off
	s_waitcnt_vscnt null, 0x0
	global_atomic_cmpswap_b64 v[4:5], v10, v[2:5], s[2:3] offset:24 glc
	s_waitcnt vmcnt(0)
	v_cmp_ne_u64_e32 vcc_lo, v[4:5], v[11:12]
	s_and_b32 exec_lo, exec_lo, vcc_lo
	s_cbranch_execz .LBB4_390
; %bb.388:
	s_mov_b32 s0, 0
.LBB4_389:                              ; =>This Inner Loop Header: Depth=1
	s_sleep 1
	global_store_b64 v[6:7], v[4:5], off
	s_waitcnt_vscnt null, 0x0
	global_atomic_cmpswap_b64 v[11:12], v10, v[2:5], s[2:3] offset:24 glc
	s_waitcnt vmcnt(0)
	v_cmp_eq_u64_e32 vcc_lo, v[11:12], v[4:5]
	v_dual_mov_b32 v4, v11 :: v_dual_mov_b32 v5, v12
	s_or_b32 s0, vcc_lo, s0
	s_delay_alu instid0(SALU_CYCLE_1)
	s_and_not1_b32 exec_lo, exec_lo, s0
	s_cbranch_execnz .LBB4_389
.LBB4_390:
	s_or_b32 exec_lo, exec_lo, s6
.LBB4_391:
	s_delay_alu instid0(SALU_CYCLE_1)
	s_or_b32 exec_lo, exec_lo, s1
	s_waitcnt vmcnt(0)
	v_dual_mov_b32 v2, v8 :: v_dual_mov_b32 v3, v9
	s_mov_b32 s0, 0
.LBB4_392:                              ; =>This Inner Loop Header: Depth=1
	flat_load_u8 v6, v[2:3]
	v_add_co_u32 v4, vcc_lo, v2, 1
	v_add_co_ci_u32_e32 v5, vcc_lo, 0, v3, vcc_lo
	s_delay_alu instid0(VALU_DEP_1) | instskip(SKIP_3) | instid1(SALU_CYCLE_1)
	v_dual_mov_b32 v2, v4 :: v_dual_mov_b32 v3, v5
	s_waitcnt vmcnt(0) lgkmcnt(0)
	v_cmp_eq_u16_e32 vcc_lo, 0, v6
	s_or_b32 s0, vcc_lo, s0
	s_and_not1_b32 exec_lo, exec_lo, s0
	s_cbranch_execnz .LBB4_392
; %bb.393:
	s_or_b32 exec_lo, exec_lo, s0
	v_sub_nc_u32_e32 v4, v4, v8
	v_dual_mov_b32 v2, v8 :: v_dual_mov_b32 v3, v9
	v_mov_b32_e32 v6, 1
	s_getpc_b64 s[0:1]
	s_add_u32 s0, s0, __ockl_fprintf_append_string_n@rel32@lo+4
	s_addc_u32 s1, s1, __ockl_fprintf_append_string_n@rel32@hi+12
	v_ashrrev_i32_e32 v5, 31, v4
	s_swappc_b64 s[30:31], s[0:1]
	s_trap 2
	s_sendmsg_rtn_b32 s0, sendmsg(MSG_RTN_GET_DOORBELL)
	s_mov_b32 ttmp2, m0
	s_waitcnt lgkmcnt(0)
	s_and_b32 s0, s0, 0x3ff
	s_delay_alu instid0(SALU_CYCLE_1) | instskip(NEXT) | instid1(SALU_CYCLE_1)
	s_bitset1_b32 s0, 10
	s_mov_b32 m0, s0
	s_sendmsg sendmsg(MSG_INTERRUPT)
	s_mov_b32 m0, ttmp2
.LBB4_394:                              ; =>This Inner Loop Header: Depth=1
	s_sethalt 5
	s_branch .LBB4_394
.Lfunc_end4:
	.size	__assert_fail, .Lfunc_end4-__assert_fail
                                        ; -- End function
	.section	.AMDGPU.csdata,"",@progbits
; Function info:
; codeLenInByte = 16136
; NumSgprs: 36
; NumVgprs: 51
; ScratchSize: 64
; MemoryBound: 0
	.text
	.p2align	2                               ; -- Begin function _Z4EvaliPiiPN2rw7LibraryEi
	.type	_Z4EvaliPiiPN2rw7LibraryEi,@function
_Z4EvaliPiiPN2rw7LibraryEi:             ; @_Z4EvaliPiiPN2rw7LibraryEi
; %bb.0:
	s_waitcnt vmcnt(0) expcnt(0) lgkmcnt(0)
	s_mov_b32 s0, s33
	s_mov_b32 s33, s32
	s_or_saveexec_b32 s1, -1
	scratch_store_b32 off, v61, s33 offset:52 ; 4-byte Folded Spill
	s_mov_b32 exec_lo, s1
	v_writelane_b32 v61, s0, 4
	s_add_i32 s32, s32, 64
	s_clause 0xc
	scratch_store_b32 off, v40, s33 offset:48
	; meta instruction
	scratch_store_b32 off, v41, s33 offset:44
	; meta instruction
	;; [unrolled: 2-line block ×12, first 2 shown]
	scratch_store_b32 off, v60, s33
	v_writelane_b32 v61, s34, 0
	v_writelane_b32 v61, s35, 1
	;; [unrolled: 1-line block ×4, first 2 shown]
	v_dual_mov_b32 v41, v2 :: v_dual_mov_b32 v42, v1
	v_ashrrev_i32_e32 v1, 31, v0
	v_dual_mov_b32 v44, v4 :: v_dual_mov_b32 v45, v3
	v_dual_mov_b32 v40, v6 :: v_dual_mov_b32 v43, v5
	s_delay_alu instid0(VALU_DEP_3) | instskip(SKIP_2) | instid1(VALU_DEP_2)
	v_lshlrev_b64 v[1:2], 2, v[0:1]
	v_mov_b32_e32 v46, 0
	s_mov_b32 s35, 0
	v_add_co_u32 v3, vcc_lo, v42, v1
	s_delay_alu instid0(VALU_DEP_3) | instskip(SKIP_4) | instid1(VALU_DEP_1)
	v_add_co_ci_u32_e32 v4, vcc_lo, v41, v2, vcc_lo
	flat_load_b32 v1, v[3:4]
	s_waitcnt vmcnt(0) lgkmcnt(0)
	v_cmp_gt_i32_e32 vcc_lo, 0, v1
	v_cmp_ne_u32_e64 s0, v1, v40
	s_and_b32 s0, vcc_lo, s0
	s_delay_alu instid0(SALU_CYCLE_1)
	s_and_saveexec_b32 s34, s0
	s_cbranch_execz .LBB5_4
; %bb.1:
	v_add_co_u32 v1, vcc_lo, 0xc4dd0, v44
	v_add_co_ci_u32_e32 v2, vcc_lo, 0, v43, vcc_lo
	v_add_co_u32 v5, vcc_lo, 0xd1df0, v44
	v_add_co_ci_u32_e32 v6, vcc_lo, 0, v43, vcc_lo
	s_delay_alu instid0(VALU_DEP_3) | instskip(SKIP_1) | instid1(VALU_DEP_3)
	v_mad_i64_i32 v[56:57], null, 0xf0, v45, v[1:2]
	v_mov_b32_e32 v46, 0
	v_mad_i64_i32 v[58:59], null, 0xf0, v45, v[5:6]
.LBB5_2:                                ; =>This Inner Loop Header: Depth=1
	v_ashrrev_i32_e32 v1, 31, v0
	flat_store_b32 v[3:4], v40
	v_dual_mov_b32 v3, v45 :: v_dual_mov_b32 v4, v44
	v_dual_mov_b32 v5, v43 :: v_dual_mov_b32 v6, v40
	v_lshlrev_b64 v[0:1], 2, v[0:1]
	s_getpc_b64 s[0:1]
	s_add_u32 s0, s0, _Z4EvaliPiiPN2rw7LibraryEi@rel32@lo+4
	s_addc_u32 s1, s1, _Z4EvaliPiiPN2rw7LibraryEi@rel32@hi+12
	v_mov_b32_e32 v2, v41
	s_delay_alu instid0(VALU_DEP_2) | instskip(SKIP_1) | instid1(VALU_DEP_2)
	v_add_co_u32 v47, vcc_lo, v0, -16
	v_add_co_ci_u32_e32 v60, vcc_lo, -1, v1, vcc_lo
	v_add_co_u32 v0, vcc_lo, v56, v47
	s_delay_alu instid0(VALU_DEP_2)
	v_add_co_ci_u32_e32 v1, vcc_lo, v57, v60, vcc_lo
	flat_load_b32 v0, v[0:1]
	v_mov_b32_e32 v1, v42
	s_swappc_b64 s[30:31], s[0:1]
	v_mov_b32_e32 v2, v0
	v_add_co_u32 v0, vcc_lo, v58, v47
	v_add_co_ci_u32_e32 v1, vcc_lo, v59, v60, vcc_lo
	s_delay_alu instid0(VALU_DEP_3) | instskip(SKIP_3) | instid1(VALU_DEP_1)
	v_add3_u32 v46, v46, v2, 1
	flat_load_b32 v0, v[0:1]
	s_waitcnt vmcnt(0) lgkmcnt(0)
	v_ashrrev_i32_e32 v1, 31, v0
	v_lshlrev_b64 v[3:4], 2, v[0:1]
	s_delay_alu instid0(VALU_DEP_1) | instskip(NEXT) | instid1(VALU_DEP_2)
	v_add_co_u32 v3, vcc_lo, v42, v3
	v_add_co_ci_u32_e32 v4, vcc_lo, v41, v4, vcc_lo
	flat_load_b32 v1, v[3:4]
	s_waitcnt vmcnt(0) lgkmcnt(0)
	v_cmp_lt_i32_e32 vcc_lo, -1, v1
	v_cmp_eq_u32_e64 s0, v1, v40
	s_delay_alu instid0(VALU_DEP_1) | instskip(NEXT) | instid1(SALU_CYCLE_1)
	s_or_b32 s0, vcc_lo, s0
	s_and_b32 s0, exec_lo, s0
	s_delay_alu instid0(SALU_CYCLE_1) | instskip(NEXT) | instid1(SALU_CYCLE_1)
	s_or_b32 s35, s0, s35
	s_and_not1_b32 exec_lo, exec_lo, s35
	s_cbranch_execnz .LBB5_2
; %bb.3:
	s_or_b32 exec_lo, exec_lo, s35
.LBB5_4:
	s_delay_alu instid0(SALU_CYCLE_1)
	s_or_b32 exec_lo, exec_lo, s34
	v_mov_b32_e32 v0, v46
	s_clause 0xc
	scratch_load_b32 v60, off, s33
	scratch_load_b32 v59, off, s33 offset:4
	scratch_load_b32 v58, off, s33 offset:8
	;; [unrolled: 1-line block ×12, first 2 shown]
	v_readlane_b32 s30, v61, 2
	v_readlane_b32 s31, v61, 3
	;; [unrolled: 1-line block ×5, first 2 shown]
	s_or_saveexec_b32 s1, -1
	scratch_load_b32 v61, off, s33 offset:52 ; 4-byte Folded Reload
	s_mov_b32 exec_lo, s1
	s_addk_i32 s32, 0xffc0
	s_mov_b32 s33, s0
	s_waitcnt vmcnt(0)
	s_setpc_b64 s[30:31]
.Lfunc_end5:
	.size	_Z4EvaliPiiPN2rw7LibraryEi, .Lfunc_end5-_Z4EvaliPiiPN2rw7LibraryEi
                                        ; -- End function
	.section	.AMDGPU.csdata,"",@progbits
; Function info:
; codeLenInByte = 772
; NumSgprs: 38
; NumVgprs: 62
; ScratchSize: 64
; MemoryBound: 0
	.text
	.protected	_Z12EvaluateNodeiPiS_S_S_S_S_PN2rw3CutES2_S_PNS0_7LibraryEPNS0_9TableNodeEi ; -- Begin function _Z12EvaluateNodeiPiS_S_S_S_S_PN2rw3CutES2_S_PNS0_7LibraryEPNS0_9TableNodeEi
	.globl	_Z12EvaluateNodeiPiS_S_S_S_S_PN2rw3CutES2_S_PNS0_7LibraryEPNS0_9TableNodeEi
	.p2align	8
	.type	_Z12EvaluateNodeiPiS_S_S_S_S_PN2rw3CutES2_S_PNS0_7LibraryEPNS0_9TableNodeEi,@function
_Z12EvaluateNodeiPiS_S_S_S_S_PN2rw3CutES2_S_PNS0_7LibraryEPNS0_9TableNodeEi: ; @_Z12EvaluateNodeiPiS_S_S_S_S_PN2rw3CutES2_S_PNS0_7LibraryEPNS0_9TableNodeEi
; %bb.0:
	s_mov_b64 s[36:37], s[2:3]
	s_load_b32 s2, s[2:3], 0x74
	s_load_b32 s3, s[36:37], 0x0
	v_and_b32_e32 v1, 0x3ff, v0
	s_movk_i32 s32, 0x1e0
	s_waitcnt lgkmcnt(0)
	s_and_b32 s2, s2, 0xffff
	s_delay_alu instid0(VALU_DEP_1) | instid1(SALU_CYCLE_1)
	v_mad_u64_u32 v[62:63], null, s15, s2, v[1:2]
	s_mov_b32 s2, exec_lo
	s_delay_alu instid0(VALU_DEP_1)
	v_cmpx_gt_u32_e64 s3, v62
	s_cbranch_execz .LBB6_74
; %bb.1:
	s_load_b64 s[0:1], s[0:1], 0x4
	s_clause 0x3
	s_load_b128 s[56:59], s[36:37], 0x48
	s_load_b64 s[38:39], s[36:37], 0x58
	s_load_b512 s[40:55], s[36:37], 0x8
	s_load_b32 s72, s[36:37], 0x60
	v_bfe_u32 v2, v0, 10, 10
	v_bfe_u32 v0, v0, 20, 10
	s_mov_b64 s[2:3], src_shared_base
	s_delay_alu instid0(SALU_CYCLE_1) | instskip(SKIP_3) | instid1(VALU_DEP_4)
	v_dual_mov_b32 v45, s3 :: v_dual_add_nc_u32 v44, 1, v62
                                        ; implicit-def: $vgpr88 : SGPR spill to VGPR lane
	v_mov_b32_e32 v46, s3
	v_add_nc_u32_e64 v63, 0x100, 16
	v_add_nc_u32_e64 v75, 0, 16
	v_dual_mov_b32 v77, 0x5f5e0ff :: v_dual_lshlrev_b32 v58, 3, v44
	v_mov_b32_e32 v76, -1
	v_mov_b32_e32 v72, 0
	v_mov_b32_e32 v60, -1
	s_mov_b64 s[64:65], src_private_base
	s_mov_b32 s64, 0
	s_waitcnt lgkmcnt(0)
	s_lshr_b32 s0, s0, 16
	s_add_u32 s66, s58, 0x80180
	s_addc_u32 s67, s59, 0
	s_add_u32 s75, s58, 0x80000
	s_addc_u32 s76, s59, 0
	s_add_u32 s68, s58, 0x40000
	s_mul_i32 s0, s0, s1
	s_addc_u32 s69, s59, 0
	s_add_u32 s77, s58, 0xc0180
	v_mul_lo_u32 v1, s0, v1
	s_addc_u32 s78, s59, 0
	s_add_u32 s79, s58, 0xc4dd0
	s_addc_u32 s80, s59, 0
	v_mul_u32_u24_e32 v2, s1, v2
	s_add_u32 s81, s58, 0xd1df0
	s_addc_u32 s82, s59, 0
	s_add_u32 s83, s58, 0xdee10
	s_addc_u32 s84, s59, 0
	s_add_u32 s85, s58, 0xebe30
	v_add3_u32 v0, v1, v2, v0
	s_addc_u32 s86, s59, 0
	s_add_u32 s87, s58, 0xc04f8
	s_addc_u32 s70, s59, 0
	s_add_u32 s0, s58, 0xc0870
	s_addc_u32 s1, s59, 0
	v_lshl_add_u32 v47, v0, 2, 0x8000
	v_lshlrev_b32_e32 v56, 5, v0
	v_writelane_b32 v88, s0, 0
	s_movk_i32 s73, 0xe0
	s_mov_b32 s74, s65
	s_mov_b32 s60, -1
	s_mov_b32 s89, 0
	s_mov_b32 s71, 0x87ffffff
	;; [unrolled: 1-line block ×3, first 2 shown]
	v_writelane_b32 v88, s1, 1
                                        ; implicit-def: $sgpr92
                                        ; implicit-def: $sgpr93
                                        ; implicit-def: $sgpr94
                                        ; implicit-def: $sgpr95
                                        ; implicit-def: $vgpr59
	s_branch .LBB6_3
.LBB6_2:                                ;   in Loop: Header=BB6_3 Depth=1
	s_or_b32 exec_lo, exec_lo, s2
	s_delay_alu instid0(SALU_CYCLE_1) | instskip(NEXT) | instid1(SALU_CYCLE_1)
	s_and_b32 s0, exec_lo, s1
	s_or_b32 s89, s0, s89
	s_and_not1_b32 s0, s93, exec_lo
	s_and_b32 s1, s95, exec_lo
	s_and_not1_b32 s2, s92, exec_lo
	s_and_b32 s3, s94, exec_lo
	s_or_b32 s93, s0, s1
	s_or_b32 s92, s2, s3
	s_and_not1_b32 exec_lo, exec_lo, s89
	s_cbranch_execz .LBB6_70
.LBB6_3:                                ; =>This Loop Header: Depth=1
                                        ;     Child Loop BB6_12 Depth 2
                                        ;       Child Loop BB6_25 Depth 3
                                        ;       Child Loop BB6_40 Depth 3
                                        ;     Child Loop BB6_52 Depth 2
	v_or_b32_e32 v0, s91, v58
	s_mov_b32 s0, -1
	s_mov_b32 s96, exec_lo
                                        ; implicit-def: $sgpr2
                                        ; implicit-def: $sgpr3
	s_delay_alu instid0(VALU_DEP_1)
	v_mad_i64_i32 v[40:41], null, v0, 28, s[52:53]
	global_load_u8 v0, v[40:41], off offset:24
	s_waitcnt vmcnt(0)
	v_cmpx_ne_u16_e32 0, v0
	s_cbranch_execz .LBB6_68
; %bb.4:                                ;   in Loop: Header=BB6_3 Depth=1
	global_load_b32 v73, v[40:41], off offset:20
	s_mov_b32 s98, exec_lo
                                        ; implicit-def: $sgpr0
                                        ; implicit-def: $sgpr1
	s_waitcnt vmcnt(0)
	v_bfe_u32 v78, v73, 27, 4
	s_delay_alu instid0(VALU_DEP_1)
	v_cmp_gt_u32_e64 s97, 3, v78
	v_cmpx_lt_u32_e32 2, v78
	s_cbranch_execz .LBB6_67
; %bb.5:                                ;   in Loop: Header=BB6_3 Depth=1
	s_mov_b32 s0, exec_lo
	v_cmpx_eq_u32_e32 3, v78
	s_cbranch_execz .LBB6_7
; %bb.6:                                ;   in Loop: Header=BB6_3 Depth=1
	v_and_or_b32 v73, v73, s71, 0x20000000
	global_store_b64 v[40:41], v[72:73], off offset:16
.LBB6_7:                                ;   in Loop: Header=BB6_3 Depth=1
	s_or_b32 exec_lo, exec_lo, s0
	v_dual_mov_b32 v0, v44 :: v_dual_mov_b32 v3, s42
	v_dual_mov_b32 v1, v40 :: v_dual_mov_b32 v2, v41
	;; [unrolled: 1-line block ×7, first 2 shown]
	v_mov_b32_e32 v14, s57
	ds_store_b32 v47, v72
	s_getpc_b64 s[0:1]
	s_add_u32 s0, s0, _Z8CalcMFFCiPN2rw3CutEPiS2_S2_S2_S2_S2_i@rel32@lo+4
	s_addc_u32 s1, s1, _Z8CalcMFFCiPN2rw3CutEPiS2_S2_S2_S2_S2_i@rel32@hi+12
	s_delay_alu instid0(SALU_CYCLE_1)
	s_swappc_b64 s[30:31], s[0:1]
	v_dual_mov_b32 v57, v0 :: v_dual_and_b32 v0, 0xffff, v73
	s_mov_b32 s61, s60
	s_mov_b32 s62, s60
	;; [unrolled: 1-line block ×3, first 2 shown]
	v_mov_b32_e32 v18, s60
	v_lshlrev_b32_e32 v2, 2, v0
	s_mov_b32 s1, -1
	s_mov_b32 s3, exec_lo
	s_clause 0x1
	global_load_b32 v0, v2, s[68:69]
	global_load_b32 v42, v2, s[66:67]
	v_mov_b32_e32 v19, s61
	s_waitcnt vmcnt(1)
	v_ashrrev_i32_e32 v1, 31, v0
	s_waitcnt vmcnt(0)
	v_ashrrev_i32_e32 v43, 31, v42
	s_delay_alu instid0(VALU_DEP_2) | instskip(NEXT) | instid1(VALU_DEP_1)
	v_lshlrev_b64 v[0:1], 4, v[0:1]
	v_add_co_u32 v0, vcc_lo, s75, v0
	s_delay_alu instid0(VALU_DEP_2) | instskip(SKIP_2) | instid1(VALU_DEP_1)
	v_add_co_ci_u32_e32 v1, vcc_lo, s76, v1, vcc_lo
	global_load_b128 v[3:6], v[0:1], off
	v_lshlrev_b64 v[0:1], 2, v[42:43]
	v_add_co_u32 v7, vcc_lo, s77, v0
	s_delay_alu instid0(VALU_DEP_2)
	v_add_co_ci_u32_e32 v8, vcc_lo, s78, v1, vcc_lo
	global_load_b32 v13, v[7:8], off
	s_waitcnt vmcnt(1)
	v_mov_b32_e32 v7, v3
	v_ashrrev_i32_e32 v8, 31, v3
	v_ashrrev_i32_e32 v9, 31, v4
	s_delay_alu instid0(VALU_DEP_2) | instskip(NEXT) | instid1(VALU_DEP_1)
	v_lshlrev_b64 v[7:8], 2, v[7:8]
	v_add_co_u32 v7, vcc_lo, v40, v7
	s_delay_alu instid0(VALU_DEP_2) | instskip(SKIP_3) | instid1(VALU_DEP_2)
	v_add_co_ci_u32_e32 v8, vcc_lo, v41, v8, vcc_lo
	global_load_b32 v3, v[7:8], off offset:4
	v_ashrrev_i32_e32 v7, 31, v6
	v_mov_b32_e32 v8, v4
	v_lshlrev_b64 v[6:7], 2, v[6:7]
	s_delay_alu instid0(VALU_DEP_2) | instskip(NEXT) | instid1(VALU_DEP_2)
	v_lshlrev_b64 v[8:9], 2, v[8:9]
	v_add_co_u32 v6, vcc_lo, v40, v6
	s_delay_alu instid0(VALU_DEP_3)
	v_add_co_ci_u32_e32 v7, vcc_lo, v41, v7, vcc_lo
	global_load_b32 v11, v[6:7], off offset:4
	v_add_co_u32 v6, vcc_lo, v40, v8
	v_add_co_ci_u32_e32 v7, vcc_lo, v41, v9, vcc_lo
	s_waitcnt vmcnt(1)
	v_ashrrev_i32_e32 v4, 31, v3
	s_delay_alu instid0(VALU_DEP_1) | instskip(SKIP_2) | instid1(VALU_DEP_1)
	v_lshlrev_b64 v[8:9], 2, v[3:4]
	global_load_b32 v4, v[6:7], off offset:4
	v_ashrrev_i32_e32 v6, 31, v5
	v_lshlrev_b64 v[6:7], 2, v[5:6]
	s_delay_alu instid0(VALU_DEP_1) | instskip(NEXT) | instid1(VALU_DEP_2)
	v_add_co_u32 v6, vcc_lo, v40, v6
	v_add_co_ci_u32_e32 v7, vcc_lo, v41, v7, vcc_lo
	s_waitcnt vmcnt(1)
	v_ashrrev_i32_e32 v12, 31, v11
	s_delay_alu instid0(VALU_DEP_1) | instskip(SKIP_2) | instid1(VALU_DEP_1)
	v_lshlrev_b64 v[16:17], 2, v[11:12]
	s_waitcnt vmcnt(0)
	v_ashrrev_i32_e32 v5, 31, v4
	v_lshlrev_b64 v[14:15], 2, v[4:5]
	global_load_b32 v5, v[6:7], off offset:4
	v_add_co_u32 v7, vcc_lo, s50, v8
	v_add_co_ci_u32_e32 v8, vcc_lo, s51, v9, vcc_lo
	v_add_co_u32 v14, vcc_lo, s50, v14
	v_add_co_ci_u32_e32 v15, vcc_lo, s51, v15, vcc_lo
	s_waitcnt vmcnt(0)
	v_ashrrev_i32_e32 v6, 31, v5
	s_delay_alu instid0(VALU_DEP_1) | instskip(SKIP_1) | instid1(VALU_DEP_2)
	v_lshlrev_b64 v[9:10], 2, v[5:6]
	v_mov_b32_e32 v6, v11
	v_add_co_u32 v9, vcc_lo, s50, v9
	s_delay_alu instid0(VALU_DEP_3)
	v_add_co_ci_u32_e32 v10, vcc_lo, s51, v10, vcc_lo
	v_add_co_u32 v16, vcc_lo, s50, v16
	v_add_co_ci_u32_e32 v17, vcc_lo, s51, v17, vcc_lo
	s_clause 0x3
	global_load_b32 v7, v[7:8], off
	global_load_b32 v8, v[14:15], off
	;; [unrolled: 1-line block ×4, first 2 shown]
	v_dual_mov_b32 v14, s60 :: v_dual_mov_b32 v17, s63
	v_dual_mov_b32 v15, s61 :: v_dual_mov_b32 v16, s62
	s_clause 0x1c
	scratch_store_b128 off, v[14:17], off offset:256
	scratch_store_b128 off, v[14:17], off offset:272
	scratch_store_b128 off, v[14:17], off
	scratch_store_b128 off, v[14:17], off offset:16
	scratch_store_b128 off, v[14:17], off offset:304
	;; [unrolled: 1-line block ×21, first 2 shown]
	scratch_store_b64 off, v[18:19], off offset:464
	scratch_store_b64 off, v[18:19], off offset:208
	scratch_store_b128 off, v[14:17], off offset:32
	scratch_store_b128 off, v[3:6], off
	; meta instruction
	; meta instruction
	scratch_store_b128 off, v[14:17], off offset:288
	s_waitcnt vmcnt(0)
	scratch_store_b128 off, v[7:10], off offset:256
	v_cmpx_lt_i32_e32 0, v13
	s_cbranch_execz .LBB6_48
; %bb.8:                                ;   in Loop: Header=BB6_3 Depth=1
	global_load_b32 v4, v2, s[58:59]
	s_getpc_b64 s[0:1]
	s_add_u32 s0, s0, P@rel32@lo+4
	s_addc_u32 s1, s1, P@rel32@hi+12
	ds_load_b32 v14, v47
	global_load_b64 v[2:3], v72, s[0:1]
	v_mov_b32_e32 v5, v72
	s_mov_b32 s5, 0
	s_mov_b32 s8, 0
	;; [unrolled: 1-line block ×3, first 2 shown]
                                        ; implicit-def: $sgpr9
                                        ; implicit-def: $sgpr11
                                        ; implicit-def: $sgpr10
                                        ; implicit-def: $sgpr12
                                        ; implicit-def: $sgpr13
	s_waitcnt lgkmcnt(0)
	v_cmp_lt_i32_e64 s0, 0, v14
	s_waitcnt vmcnt(1)
	v_and_b32_e32 v4, 15, v4
	s_branch .LBB6_12
.LBB6_9:                                ;   in Loop: Header=BB6_12 Depth=2
	s_or_b32 exec_lo, exec_lo, s17
	s_add_i32 s4, s4, 1
	s_xor_b32 s2, exec_lo, -1
	v_cmp_eq_u32_e32 vcc_lo, s4, v13
	s_or_not1_b32 s1, vcc_lo, exec_lo
.LBB6_10:                               ;   in Loop: Header=BB6_12 Depth=2
	s_or_b32 exec_lo, exec_lo, s16
	s_delay_alu instid0(SALU_CYCLE_1)
	s_and_not1_b32 s6, s13, exec_lo
	s_and_b32 s2, s2, exec_lo
	s_and_not1_b32 s7, s12, exec_lo
	s_and_b32 s1, s1, exec_lo
	s_or_b32 s13, s6, s2
	s_or_b32 s12, s7, s1
.LBB6_11:                               ;   in Loop: Header=BB6_12 Depth=2
	s_or_b32 exec_lo, exec_lo, s15
	s_xor_b32 s1, s13, -1
	s_and_b32 s2, exec_lo, s12
	s_delay_alu instid0(SALU_CYCLE_1)
	s_or_b32 s8, s2, s8
	s_and_not1_b32 s2, s10, exec_lo
	s_and_b32 s6, s14, exec_lo
	s_and_not1_b32 s7, s11, exec_lo
	s_or_b32 s10, s2, s6
	s_and_b32 s2, s5, exec_lo
	s_and_not1_b32 s6, s9, exec_lo
	s_and_b32 s1, s1, exec_lo
	s_or_b32 s11, s7, s2
	s_or_b32 s9, s6, s1
	s_and_not1_b32 exec_lo, exec_lo, s8
	s_cbranch_execz .LBB6_47
.LBB6_12:                               ;   Parent Loop BB6_3 Depth=1
                                        ; =>  This Loop Header: Depth=2
                                        ;       Child Loop BB6_25 Depth 3
                                        ;       Child Loop BB6_40 Depth 3
	s_lshl_b64 s[6:7], s[4:5], 2
	s_delay_alu instid0(SALU_CYCLE_1)
	s_add_u32 s14, s6, s79
	s_addc_u32 s15, s7, s80
	s_or_b32 s13, s13, exec_lo
	v_mad_i64_i32 v[6:7], null, 0xf0, v42, s[14:15]
	s_mov_b32 s14, -1
	s_or_b32 s12, s12, exec_lo
	s_mov_b32 s15, exec_lo
	global_load_b32 v6, v[6:7], off
	s_waitcnt vmcnt(0)
	v_lshl_add_u32 v7, v6, 2, 0x100
	scratch_load_b32 v8, v7, off
	s_waitcnt vmcnt(0)
	v_cmpx_ne_u32_e32 -1, v8
	s_cbranch_execz .LBB6_11
; %bb.13:                               ;   in Loop: Header=BB6_12 Depth=2
	s_add_u32 s16, s6, s81
	s_addc_u32 s17, s7, s82
	s_mov_b32 s1, -1
	v_mad_i64_i32 v[9:10], null, 0xf0, v42, s[16:17]
	s_mov_b32 s2, -1
	s_mov_b32 s16, exec_lo
	global_load_b32 v7, v[9:10], off
	s_waitcnt vmcnt(0)
	v_lshl_add_u32 v9, v7, 2, 0x100
	scratch_load_b32 v9, v9, off
	s_waitcnt vmcnt(0)
	v_cmpx_ne_u32_e32 -1, v9
	s_cbranch_execz .LBB6_10
; %bb.14:                               ;   in Loop: Header=BB6_12 Depth=2
	v_lshl_add_u32 v10, v6, 2, 0
	v_max_i32_e32 v8, v8, v9
	s_lshl_b32 s18, s4, 2
	s_mov_b32 s17, exec_lo
	v_add_nc_u32_e32 v15, s18, v63
	scratch_load_b32 v16, v10, off
	v_add_nc_u32_e32 v8, 1, v8
	scratch_store_b32 v15, v8, off
	s_waitcnt vmcnt(0)
	v_cmpx_ne_u32_e32 -1, v16
	s_cbranch_execz .LBB6_9
; %bb.15:                               ;   in Loop: Header=BB6_12 Depth=2
	v_lshl_add_u32 v8, v7, 2, 0
	v_cmp_ne_u32_e64 s1, v16, v44
	scratch_load_b32 v8, v8, off
	s_waitcnt vmcnt(0)
	v_cmp_ne_u32_e32 vcc_lo, -1, v8
	v_cmp_ne_u32_e64 s2, v8, v44
	s_and_b32 s1, s1, vcc_lo
	s_delay_alu instid0(VALU_DEP_1) | instid1(SALU_CYCLE_1)
	s_and_b32 s1, s2, s1
	s_delay_alu instid0(SALU_CYCLE_1)
	s_and_b32 exec_lo, exec_lo, s1
	s_cbranch_execz .LBB6_9
; %bb.16:                               ;   in Loop: Header=BB6_12 Depth=2
	s_add_u32 s20, s6, s83
	s_addc_u32 s21, s7, s84
	s_add_u32 s6, s6, s85
	s_addc_u32 s7, s7, s86
	v_mad_i64_i32 v[11:12], null, 0xf0, v42, s[20:21]
	v_mad_i64_i32 v[9:10], null, 0xf0, v42, s[6:7]
	v_mov_b32_e32 v19, v8
	s_mov_b32 s1, exec_lo
	s_clause 0x1
	global_load_b32 v17, v[9:10], off
	global_load_b32 v11, v[11:12], off
	v_lshrrev_b64 v[9:10], v7, v[4:5]
	v_lshrrev_b64 v[6:7], v6, v[4:5]
	s_delay_alu instid0(VALU_DEP_2) | instskip(NEXT) | instid1(VALU_DEP_2)
	v_and_b32_e32 v7, 1, v9
	v_and_b32_e32 v9, 1, v6
	s_waitcnt vmcnt(1)
	s_delay_alu instid0(VALU_DEP_2) | instskip(SKIP_1) | instid1(VALU_DEP_2)
	v_xor_b32_e32 v6, v17, v7
	s_waitcnt vmcnt(0)
	v_xor_b32_e32 v17, v11, v9
	s_delay_alu instid0(VALU_DEP_2)
	v_mov_b32_e32 v18, v6
	v_cmpx_gt_i32_e64 v16, v8
; %bb.17:                               ;   in Loop: Header=BB6_12 Depth=2
	s_delay_alu instid0(VALU_DEP_3)
	v_dual_mov_b32 v18, v17 :: v_dual_mov_b32 v17, v6
	v_mov_b32_e32 v19, v16
	v_mov_b32_e32 v16, v8
; %bb.18:                               ;   in Loop: Header=BB6_12 Depth=2
	s_or_b32 exec_lo, exec_lo, s1
	global_load_b32 v10, v[2:3], off
	v_mul_lo_u32 v6, 0x38f, v17
	v_mul_lo_u32 v7, 0x161, v18
	;; [unrolled: 1-line block ×4, first 2 shown]
	s_mov_b32 s1, exec_lo
	s_delay_alu instid0(VALU_DEP_3) | instskip(NEXT) | instid1(VALU_DEP_1)
	v_xor_b32_e32 v6, v6, v7
	v_xor3_b32 v6, v6, v9, v8
                                        ; implicit-def: $vgpr8_vgpr9
	s_delay_alu instid0(VALU_DEP_1) | instskip(SKIP_2) | instid1(VALU_DEP_1)
	v_ashrrev_i32_e32 v11, 31, v6
	s_waitcnt vmcnt(0)
	v_ashrrev_i32_e32 v7, 31, v10
	v_or_b32_e32 v73, v11, v7
	s_delay_alu instid0(VALU_DEP_1)
	v_cmpx_ne_u64_e32 0, v[72:73]
	s_xor_b32 s2, exec_lo, s1
	s_cbranch_execz .LBB6_20
; %bb.19:                               ;   in Loop: Header=BB6_12 Depth=2
	v_cvt_f32_u32_e32 v8, v10
	v_cvt_f32_u32_e32 v9, v7
	v_sub_co_u32 v12, vcc_lo, 0, v10
	v_sub_co_ci_u32_e32 v20, vcc_lo, 0, v7, vcc_lo
	s_delay_alu instid0(VALU_DEP_3) | instskip(NEXT) | instid1(VALU_DEP_1)
	v_fmac_f32_e32 v8, 0x4f800000, v9
	v_rcp_f32_e32 v8, v8
	s_waitcnt_depctr 0xfff
	v_mul_f32_e32 v8, 0x5f7ffffc, v8
	s_delay_alu instid0(VALU_DEP_1) | instskip(NEXT) | instid1(VALU_DEP_1)
	v_mul_f32_e32 v9, 0x2f800000, v8
	v_trunc_f32_e32 v9, v9
	s_delay_alu instid0(VALU_DEP_1) | instskip(SKIP_1) | instid1(VALU_DEP_2)
	v_fmac_f32_e32 v8, 0xcf800000, v9
	v_cvt_u32_f32_e32 v9, v9
	v_cvt_u32_f32_e32 v8, v8
	s_delay_alu instid0(VALU_DEP_2) | instskip(NEXT) | instid1(VALU_DEP_2)
	v_mul_lo_u32 v21, v12, v9
	v_mul_hi_u32 v22, v12, v8
	v_mul_lo_u32 v23, v20, v8
	s_delay_alu instid0(VALU_DEP_2) | instskip(SKIP_1) | instid1(VALU_DEP_2)
	v_add_nc_u32_e32 v21, v22, v21
	v_mul_lo_u32 v22, v12, v8
	v_add_nc_u32_e32 v21, v21, v23
	s_delay_alu instid0(VALU_DEP_2) | instskip(NEXT) | instid1(VALU_DEP_2)
	v_mul_hi_u32 v23, v8, v22
	v_mul_lo_u32 v24, v8, v21
	v_mul_hi_u32 v25, v8, v21
	v_mul_hi_u32 v26, v9, v22
	v_mul_lo_u32 v22, v9, v22
	v_mul_hi_u32 v27, v9, v21
	v_mul_lo_u32 v21, v9, v21
	v_add_co_u32 v23, vcc_lo, v23, v24
	v_add_co_ci_u32_e32 v24, vcc_lo, 0, v25, vcc_lo
	s_delay_alu instid0(VALU_DEP_2) | instskip(NEXT) | instid1(VALU_DEP_2)
	v_add_co_u32 v22, vcc_lo, v23, v22
	v_add_co_ci_u32_e32 v22, vcc_lo, v24, v26, vcc_lo
	v_add_co_ci_u32_e32 v23, vcc_lo, 0, v27, vcc_lo
	s_delay_alu instid0(VALU_DEP_2) | instskip(NEXT) | instid1(VALU_DEP_2)
	v_add_co_u32 v21, vcc_lo, v22, v21
	v_add_co_ci_u32_e32 v22, vcc_lo, 0, v23, vcc_lo
	s_delay_alu instid0(VALU_DEP_2) | instskip(NEXT) | instid1(VALU_DEP_2)
	v_add_co_u32 v8, vcc_lo, v8, v21
	v_add_co_ci_u32_e32 v9, vcc_lo, v9, v22, vcc_lo
	s_delay_alu instid0(VALU_DEP_2) | instskip(SKIP_1) | instid1(VALU_DEP_3)
	v_mul_hi_u32 v21, v12, v8
	v_mul_lo_u32 v20, v20, v8
	v_mul_lo_u32 v22, v12, v9
	;; [unrolled: 1-line block ×3, first 2 shown]
	s_delay_alu instid0(VALU_DEP_2) | instskip(NEXT) | instid1(VALU_DEP_2)
	v_add_nc_u32_e32 v21, v21, v22
	v_mul_hi_u32 v24, v9, v12
	s_delay_alu instid0(VALU_DEP_2) | instskip(SKIP_2) | instid1(VALU_DEP_3)
	v_add_nc_u32_e32 v20, v21, v20
	v_mul_hi_u32 v21, v8, v12
	v_mul_lo_u32 v12, v9, v12
	v_mul_lo_u32 v22, v8, v20
	v_mul_hi_u32 v23, v8, v20
	v_mul_hi_u32 v25, v9, v20
	v_mul_lo_u32 v20, v9, v20
	s_delay_alu instid0(VALU_DEP_4) | instskip(NEXT) | instid1(VALU_DEP_4)
	v_add_co_u32 v21, vcc_lo, v21, v22
	v_add_co_ci_u32_e32 v22, vcc_lo, 0, v23, vcc_lo
	s_delay_alu instid0(VALU_DEP_2) | instskip(NEXT) | instid1(VALU_DEP_2)
	v_add_co_u32 v12, vcc_lo, v21, v12
	v_add_co_ci_u32_e32 v12, vcc_lo, v22, v24, vcc_lo
	v_add_co_ci_u32_e32 v21, vcc_lo, 0, v25, vcc_lo
	s_delay_alu instid0(VALU_DEP_2) | instskip(NEXT) | instid1(VALU_DEP_2)
	v_add_co_u32 v12, vcc_lo, v12, v20
	v_add_co_ci_u32_e32 v20, vcc_lo, 0, v21, vcc_lo
	s_delay_alu instid0(VALU_DEP_2) | instskip(NEXT) | instid1(VALU_DEP_2)
	v_add_co_u32 v12, vcc_lo, v8, v12
	v_add_co_ci_u32_e32 v24, vcc_lo, v9, v20, vcc_lo
	s_delay_alu instid0(VALU_DEP_2) | instskip(SKIP_1) | instid1(VALU_DEP_3)
	v_mul_hi_u32 v25, v6, v12
	v_mad_u64_u32 v[20:21], null, v11, v12, 0
	v_mad_u64_u32 v[8:9], null, v6, v24, 0
	v_mad_u64_u32 v[22:23], null, v11, v24, 0
	s_delay_alu instid0(VALU_DEP_2) | instskip(NEXT) | instid1(VALU_DEP_3)
	v_add_co_u32 v8, vcc_lo, v25, v8
	v_add_co_ci_u32_e32 v9, vcc_lo, 0, v9, vcc_lo
	s_delay_alu instid0(VALU_DEP_2) | instskip(NEXT) | instid1(VALU_DEP_2)
	v_add_co_u32 v8, vcc_lo, v8, v20
	v_add_co_ci_u32_e32 v8, vcc_lo, v9, v21, vcc_lo
	v_add_co_ci_u32_e32 v9, vcc_lo, 0, v23, vcc_lo
	s_delay_alu instid0(VALU_DEP_2) | instskip(NEXT) | instid1(VALU_DEP_2)
	v_add_co_u32 v12, vcc_lo, v8, v22
	v_add_co_ci_u32_e32 v20, vcc_lo, 0, v9, vcc_lo
	s_delay_alu instid0(VALU_DEP_2) | instskip(SKIP_1) | instid1(VALU_DEP_3)
	v_mul_lo_u32 v21, v7, v12
	v_mad_u64_u32 v[8:9], null, v10, v12, 0
	v_mul_lo_u32 v12, v10, v20
	s_delay_alu instid0(VALU_DEP_2) | instskip(NEXT) | instid1(VALU_DEP_2)
	v_sub_co_u32 v6, vcc_lo, v6, v8
	v_add3_u32 v9, v9, v12, v21
	s_delay_alu instid0(VALU_DEP_1) | instskip(NEXT) | instid1(VALU_DEP_1)
	v_sub_nc_u32_e32 v12, v11, v9
	v_sub_co_ci_u32_e64 v8, s1, v12, v7, vcc_lo
	v_sub_co_ci_u32_e32 v9, vcc_lo, v11, v9, vcc_lo
	v_sub_co_u32 v11, vcc_lo, v6, v10
	s_delay_alu instid0(VALU_DEP_1) | instskip(SKIP_3) | instid1(VALU_DEP_3)
	v_subrev_co_ci_u32_e64 v12, s1, 0, v8, vcc_lo
	v_cmp_ge_u32_e64 s1, v6, v10
	v_sub_co_ci_u32_e32 v8, vcc_lo, v8, v7, vcc_lo
	v_cmp_ge_u32_e32 vcc_lo, v9, v7
	v_cndmask_b32_e64 v20, 0, -1, s1
	v_cmp_ge_u32_e64 s1, v11, v10
	v_cndmask_b32_e64 v23, 0, -1, vcc_lo
	v_cmp_eq_u32_e32 vcc_lo, v12, v7
	s_delay_alu instid0(VALU_DEP_3) | instskip(SKIP_1) | instid1(VALU_DEP_1)
	v_cndmask_b32_e64 v21, 0, -1, s1
	v_cmp_ge_u32_e64 s1, v12, v7
	v_cndmask_b32_e64 v22, 0, -1, s1
	v_cmp_eq_u32_e64 s1, v9, v7
	s_delay_alu instid0(VALU_DEP_2) | instskip(SKIP_2) | instid1(VALU_DEP_3)
	v_cndmask_b32_e32 v21, v22, v21, vcc_lo
	v_sub_co_u32 v10, vcc_lo, v11, v10
	v_subrev_co_ci_u32_e32 v8, vcc_lo, 0, v8, vcc_lo
	v_cmp_ne_u32_e32 vcc_lo, 0, v21
	v_cndmask_b32_e64 v7, v23, v20, s1
	s_delay_alu instid0(VALU_DEP_3) | instskip(SKIP_1) | instid1(VALU_DEP_3)
	v_cndmask_b32_e32 v8, v12, v8, vcc_lo
	v_cndmask_b32_e32 v10, v11, v10, vcc_lo
	v_cmp_ne_u32_e32 vcc_lo, 0, v7
	s_delay_alu instid0(VALU_DEP_2)
	v_dual_cndmask_b32 v9, v9, v8 :: v_dual_cndmask_b32 v8, v6, v10
                                        ; implicit-def: $vgpr10
                                        ; implicit-def: $vgpr6_vgpr7
.LBB6_20:                               ;   in Loop: Header=BB6_12 Depth=2
	s_and_not1_saveexec_b32 s1, s2
	s_cbranch_execz .LBB6_22
; %bb.21:                               ;   in Loop: Header=BB6_12 Depth=2
	v_cvt_f32_u32_e32 v7, v10
	v_sub_nc_u32_e32 v8, 0, v10
	v_mov_b32_e32 v9, v72
	s_delay_alu instid0(VALU_DEP_3) | instskip(SKIP_2) | instid1(VALU_DEP_1)
	v_rcp_iflag_f32_e32 v7, v7
	s_waitcnt_depctr 0xfff
	v_mul_f32_e32 v7, 0x4f7ffffe, v7
	v_cvt_u32_f32_e32 v7, v7
	s_delay_alu instid0(VALU_DEP_1) | instskip(NEXT) | instid1(VALU_DEP_1)
	v_mul_lo_u32 v8, v8, v7
	v_mul_hi_u32 v8, v7, v8
	s_delay_alu instid0(VALU_DEP_1) | instskip(NEXT) | instid1(VALU_DEP_1)
	v_add_nc_u32_e32 v7, v7, v8
	v_mul_hi_u32 v7, v6, v7
	s_delay_alu instid0(VALU_DEP_1) | instskip(NEXT) | instid1(VALU_DEP_1)
	v_mul_lo_u32 v7, v7, v10
	v_sub_nc_u32_e32 v6, v6, v7
	s_delay_alu instid0(VALU_DEP_1) | instskip(SKIP_1) | instid1(VALU_DEP_2)
	v_sub_nc_u32_e32 v7, v6, v10
	v_cmp_ge_u32_e32 vcc_lo, v6, v10
	v_cndmask_b32_e32 v6, v6, v7, vcc_lo
	s_delay_alu instid0(VALU_DEP_1) | instskip(SKIP_1) | instid1(VALU_DEP_2)
	v_sub_nc_u32_e32 v7, v6, v10
	v_cmp_ge_u32_e32 vcc_lo, v6, v10
	v_cndmask_b32_e32 v8, v6, v7, vcc_lo
.LBB6_22:                               ;   in Loop: Header=BB6_12 Depth=2
	s_or_b32 exec_lo, exec_lo, s1
	s_delay_alu instid0(VALU_DEP_1) | instskip(SKIP_1) | instid1(VALU_DEP_1)
	v_lshlrev_b64 v[6:7], 3, v[8:9]
	s_mov_b32 s1, exec_lo
	v_add_co_u32 v6, vcc_lo, s38, v6
	s_delay_alu instid0(VALU_DEP_2)
	v_add_co_ci_u32_e32 v7, vcc_lo, s39, v7, vcc_lo
	global_load_b32 v8, v[6:7], off offset:4
	v_mov_b32_e32 v6, -1
	s_waitcnt vmcnt(0)
	v_cmpx_ne_u32_e32 -1, v8
	s_cbranch_execz .LBB6_36
; %bb.23:                               ;   in Loop: Header=BB6_12 Depth=2
	s_mov_b32 s2, 0
                                        ; implicit-def: $vgpr20
	s_branch .LBB6_25
.LBB6_24:                               ;   in Loop: Header=BB6_25 Depth=3
	s_or_b32 exec_lo, exec_lo, s7
	v_mov_b32_e32 v20, v7
	s_and_b32 s6, exec_lo, s6
	s_delay_alu instid0(SALU_CYCLE_1) | instskip(NEXT) | instid1(SALU_CYCLE_1)
	s_or_b32 s2, s6, s2
	s_and_not1_b32 exec_lo, exec_lo, s2
	s_cbranch_execz .LBB6_35
.LBB6_25:                               ;   Parent Loop BB6_3 Depth=1
                                        ;     Parent Loop BB6_12 Depth=2
                                        ; =>    This Inner Loop Header: Depth=3
	v_ashrrev_i32_e32 v9, 31, v8
	s_mov_b32 s7, exec_lo
                                        ; implicit-def: $sgpr19
	s_delay_alu instid0(VALU_DEP_1) | instskip(NEXT) | instid1(VALU_DEP_1)
	v_lshlrev_b64 v[6:7], 3, v[8:9]
	v_add_co_u32 v9, vcc_lo, s38, v6
	s_delay_alu instid0(VALU_DEP_2) | instskip(SKIP_3) | instid1(VALU_DEP_1)
	v_add_co_ci_u32_e32 v10, vcc_lo, s39, v7, vcc_lo
	global_load_b32 v7, v[9:10], off
	s_waitcnt vmcnt(0)
	v_ashrrev_i32_e32 v8, 31, v7
	v_lshlrev_b64 v[11:12], 2, v[7:8]
	s_delay_alu instid0(VALU_DEP_1) | instskip(NEXT) | instid1(VALU_DEP_2)
	v_add_co_u32 v21, vcc_lo, s42, v11
	v_add_co_ci_u32_e32 v22, vcc_lo, s43, v12, vcc_lo
	global_load_b32 v6, v[21:22], off
	s_waitcnt vmcnt(0)
	v_cmp_ne_u32_e64 s6, v6, v16
	v_cmpx_eq_u32_e64 v6, v16
	s_cbranch_execz .LBB6_31
; %bb.26:                               ;   in Loop: Header=BB6_25 Depth=3
	v_add_co_u32 v21, vcc_lo, s44, v11
	v_add_co_ci_u32_e32 v22, vcc_lo, s45, v12, vcc_lo
	s_mov_b32 s21, exec_lo
                                        ; implicit-def: $sgpr19
	global_load_b32 v6, v[21:22], off
	s_waitcnt vmcnt(0)
	v_cmp_ne_u32_e64 s20, v6, v19
	v_cmpx_eq_u32_e64 v6, v19
	s_cbranch_execz .LBB6_30
; %bb.27:                               ;   in Loop: Header=BB6_25 Depth=3
	v_add_co_u32 v21, vcc_lo, s46, v11
	v_add_co_ci_u32_e32 v22, vcc_lo, s47, v12, vcc_lo
	s_mov_b32 s23, exec_lo
                                        ; implicit-def: $sgpr19
	global_load_b32 v6, v[21:22], off
	s_waitcnt vmcnt(0)
	v_cmp_ne_u32_e64 s22, v6, v17
	v_cmpx_eq_u32_e64 v6, v17
	s_cbranch_execz .LBB6_29
; %bb.28:                               ;   in Loop: Header=BB6_25 Depth=3
	v_add_co_u32 v11, vcc_lo, s48, v11
	v_add_co_ci_u32_e32 v12, vcc_lo, s49, v12, vcc_lo
	s_and_not1_b32 s22, s22, exec_lo
	s_mov_b32 s19, 0
	global_load_b32 v6, v[11:12], off
	s_waitcnt vmcnt(0)
	v_cmp_ne_u32_e32 vcc_lo, v6, v18
	s_and_b32 s24, vcc_lo, exec_lo
	s_delay_alu instid0(SALU_CYCLE_1)
	s_or_b32 s22, s22, s24
.LBB6_29:                               ;   in Loop: Header=BB6_25 Depth=3
	s_or_b32 exec_lo, exec_lo, s23
	s_delay_alu instid0(SALU_CYCLE_1) | instskip(SKIP_1) | instid1(SALU_CYCLE_1)
	s_and_not1_b32 s20, s20, exec_lo
	s_and_b32 s22, s22, exec_lo
	s_or_b32 s20, s20, s22
.LBB6_30:                               ;   in Loop: Header=BB6_25 Depth=3
	s_or_b32 exec_lo, exec_lo, s21
	s_delay_alu instid0(SALU_CYCLE_1) | instskip(SKIP_1) | instid1(SALU_CYCLE_1)
	s_and_not1_b32 s6, s6, exec_lo
	s_and_b32 s20, s20, exec_lo
	s_or_b32 s6, s6, s20
.LBB6_31:                               ;   in Loop: Header=BB6_25 Depth=3
	s_or_b32 exec_lo, exec_lo, s7
	s_delay_alu instid0(VALU_DEP_2)
	s_and_saveexec_b32 s7, s6
; %bb.32:                               ;   in Loop: Header=BB6_25 Depth=3
	v_mov_b32_e32 v7, v20
	s_or_b32 s19, s19, exec_lo
; %bb.33:                               ;   in Loop: Header=BB6_25 Depth=3
	s_or_b32 exec_lo, exec_lo, s7
	s_delay_alu instid0(VALU_DEP_1)
	v_mov_b32_e32 v6, v7
	s_mov_b32 s6, -1
                                        ; implicit-def: $vgpr8
	s_and_saveexec_b32 s7, s19
	s_cbranch_execz .LBB6_24
; %bb.34:                               ;   in Loop: Header=BB6_25 Depth=3
	global_load_b32 v8, v[9:10], off offset:4
	v_mov_b32_e32 v6, -1
	s_waitcnt vmcnt(0)
	v_cmp_eq_u32_e32 vcc_lo, -1, v8
	s_or_not1_b32 s6, vcc_lo, exec_lo
	s_branch .LBB6_24
.LBB6_35:                               ;   in Loop: Header=BB6_12 Depth=2
	s_or_b32 exec_lo, exec_lo, s2
.LBB6_36:                               ;   in Loop: Header=BB6_12 Depth=2
	s_delay_alu instid0(SALU_CYCLE_1)
	s_or_b32 exec_lo, exec_lo, s1
	v_cmp_ne_u32_e32 vcc_lo, -1, v6
	s_and_b32 exec_lo, exec_lo, vcc_lo
	s_cbranch_execz .LBB6_9
; %bb.37:                               ;   in Loop: Header=BB6_12 Depth=2
	v_mov_b32_e32 v8, 0
	s_and_saveexec_b32 s1, s0
	s_cbranch_execz .LBB6_45
; %bb.38:                               ;   in Loop: Header=BB6_12 Depth=2
	v_mov_b32_e32 v7, v56
	s_mov_b32 s2, 0
	s_mov_b32 s20, 0
                                        ; implicit-def: $sgpr6
                                        ; implicit-def: $sgpr19
                                        ; implicit-def: $sgpr7
	s_set_inst_prefetch_distance 0x1
	s_branch .LBB6_40
	.p2align	6
.LBB6_39:                               ;   in Loop: Header=BB6_40 Depth=3
	s_or_b32 exec_lo, exec_lo, s23
	s_delay_alu instid0(SALU_CYCLE_1) | instskip(SKIP_4) | instid1(SALU_CYCLE_1)
	s_and_b32 s23, exec_lo, s19
	v_dual_mov_b32 v8, s22 :: v_dual_mov_b32 v9, s20
	s_or_b32 s2, s23, s2
	s_and_not1_b32 s6, s6, exec_lo
	s_and_b32 s20, s7, exec_lo
	s_or_b32 s6, s6, s20
	s_mov_b32 s20, s21
	s_and_not1_b32 exec_lo, exec_lo, s2
	s_cbranch_execz .LBB6_42
.LBB6_40:                               ;   Parent Loop BB6_3 Depth=1
                                        ;     Parent Loop BB6_12 Depth=2
                                        ; =>    This Inner Loop Header: Depth=3
	ds_load_b32 v8, v7
	s_or_b32 s7, s7, exec_lo
	s_or_b32 s19, s19, exec_lo
	s_mov_b32 s23, exec_lo
                                        ; implicit-def: $sgpr21
                                        ; implicit-def: $sgpr22
	s_waitcnt lgkmcnt(0)
	v_cmpx_ne_u32_e64 v8, v6
	s_cbranch_execz .LBB6_39
; %bb.41:                               ;   in Loop: Header=BB6_40 Depth=3
	s_add_i32 s21, s20, 1
	v_add_nc_u32_e32 v7, 4, v7
	v_cmp_eq_u32_e32 vcc_lo, s21, v14
	s_and_not1_b32 s19, s19, exec_lo
	s_mov_b32 s22, 0
	s_and_not1_b32 s7, s7, exec_lo
	s_and_b32 s24, vcc_lo, exec_lo
	s_delay_alu instid0(SALU_CYCLE_1)
	s_or_b32 s19, s19, s24
	s_branch .LBB6_39
.LBB6_42:                               ;   in Loop: Header=BB6_12 Depth=2
	s_set_inst_prefetch_distance 0x2
	s_or_b32 exec_lo, exec_lo, s2
	s_and_saveexec_b32 s2, s6
	s_delay_alu instid0(SALU_CYCLE_1)
	s_xor_b32 s2, exec_lo, s2
	s_cbranch_execz .LBB6_44
; %bb.43:                               ;   in Loop: Header=BB6_12 Depth=2
	v_lshl_add_u32 v7, v9, 2, 0xe0
	scratch_load_b32 v7, v7, off
	s_waitcnt vmcnt(0)
	v_cmp_eq_u32_e32 vcc_lo, 0, v7
	v_cndmask_b32_e64 v8, 0, 1, vcc_lo
.LBB6_44:                               ;   in Loop: Header=BB6_12 Depth=2
	s_or_b32 exec_lo, exec_lo, s2
.LBB6_45:                               ;   in Loop: Header=BB6_12 Depth=2
	s_delay_alu instid0(SALU_CYCLE_1) | instskip(NEXT) | instid1(VALU_DEP_1)
	s_or_b32 exec_lo, exec_lo, s1
	v_cmp_eq_u32_e32 vcc_lo, 0, v8
	s_and_b32 exec_lo, exec_lo, vcc_lo
	s_cbranch_execz .LBB6_9
; %bb.46:                               ;   in Loop: Header=BB6_12 Depth=2
	v_ashrrev_i32_e32 v7, 31, v6
	s_delay_alu instid0(VALU_DEP_1) | instskip(NEXT) | instid1(VALU_DEP_1)
	v_lshlrev_b64 v[7:8], 2, v[6:7]
	v_add_co_u32 v7, vcc_lo, s50, v7
	s_delay_alu instid0(VALU_DEP_2)
	v_add_co_ci_u32_e32 v8, vcc_lo, s51, v8, vcc_lo
	global_load_b32 v7, v[7:8], off
	v_add_nc_u32_e32 v8, s18, v75
	scratch_store_b32 v8, v6, off
	s_waitcnt vmcnt(0)
	scratch_store_b32 v15, v7, off
	s_branch .LBB6_9
.LBB6_47:                               ;   in Loop: Header=BB6_3 Depth=1
	s_or_b32 exec_lo, exec_lo, s8
	s_delay_alu instid0(SALU_CYCLE_1)
	s_and_b32 s62, s11, exec_lo
	s_and_b32 s61, s10, exec_lo
	s_or_not1_b32 s1, s9, exec_lo
.LBB6_48:                               ;   in Loop: Header=BB6_3 Depth=1
	s_or_b32 exec_lo, exec_lo, s3
	s_mov_b32 s0, s97
	s_and_saveexec_b32 s2, s1
	s_delay_alu instid0(SALU_CYCLE_1)
	s_xor_b32 s63, exec_lo, s2
	s_cbranch_execz .LBB6_66
; %bb.49:                               ;   in Loop: Header=BB6_3 Depth=1
	v_add_co_u32 v0, vcc_lo, s87, v0
	v_add_co_ci_u32_e32 v1, vcc_lo, s70, v1, vcc_lo
	s_mov_b32 s2, -1
	s_mov_b32 s99, exec_lo
                                        ; implicit-def: $sgpr0
                                        ; implicit-def: $sgpr1
	global_load_b32 v79, v[0:1], off
	s_waitcnt vmcnt(0)
	v_cmpx_lt_i32_e32 0, v79
	s_cbranch_execz .LBB6_63
; %bb.50:                               ;   in Loop: Header=BB6_3 Depth=1
	v_readlane_b32 s0, v88, 0
	v_readlane_b32 s1, v88, 1
	s_mov_b32 s88, s87
	s_mov_b32 s101, -2
	s_mov_b32 s100, 0
	s_mov_b32 s102, 0
	v_mad_i64_i32 v[73:74], null, 0x50, v42, s[0:1]
                                        ; implicit-def: $sgpr104
                                        ; implicit-def: $sgpr90
                                        ; implicit-def: $sgpr103
	s_branch .LBB6_52
.LBB6_51:                               ;   in Loop: Header=BB6_52 Depth=2
	s_or_b32 exec_lo, exec_lo, s4
	s_xor_b32 s0, s0, -1
	s_and_b32 s3, exec_lo, s73
	s_delay_alu instid0(SALU_CYCLE_1)
	s_or_b32 s100, s3, s100
	s_and_not1_b32 s3, s103, exec_lo
	s_and_b32 s0, s0, exec_lo
	s_and_not1_b32 s4, s90, exec_lo
	s_or_b32 s103, s3, s0
	s_and_b32 s0, s1, exec_lo
	s_and_not1_b32 s1, s104, exec_lo
	s_and_b32 s2, s2, exec_lo
	s_or_b32 s90, s4, s0
	s_or_b32 s104, s1, s2
	s_and_not1_b32 exec_lo, exec_lo, s100
	s_cbranch_execz .LBB6_62
.LBB6_52:                               ;   Parent Loop BB6_3 Depth=1
                                        ; =>  This Inner Loop Header: Depth=2
	global_load_b32 v43, v[73:74], off
	s_mov_b32 s73, -1
	s_mov_b32 s3, -1
	s_mov_b32 s87, exec_lo
                                        ; implicit-def: $sgpr1
                                        ; implicit-def: $sgpr2
	s_waitcnt vmcnt(0)
	v_lshl_add_u32 v0, v43, 2, 0
	scratch_load_b32 v0, v0, off
	s_waitcnt vmcnt(0)
	v_cmpx_ne_u32_e64 v0, v44
	s_cbranch_execz .LBB6_60
; %bb.53:                               ;   in Loop: Header=BB6_52 Depth=2
	v_dual_mov_b32 v0, v43 :: v_dual_mov_b32 v1, s64
	v_dual_mov_b32 v2, s65 :: v_dual_mov_b32 v3, v42
	;; [unrolled: 1-line block ×3, first 2 shown]
	v_mov_b32_e32 v6, s101
	s_getpc_b64 s[0:1]
	s_add_u32 s0, s0, _Z4EvaliPiiPN2rw7LibraryEi@rel32@lo+4
	s_addc_u32 s1, s1, _Z4EvaliPiiPN2rw7LibraryEi@rel32@hi+12
	s_delay_alu instid0(SALU_CYCLE_1)
	s_swappc_b64 s[30:31], s[0:1]
	v_lshl_add_u32 v1, v43, 2, 0x100
	s_mov_b32 s1, 0
	s_mov_b32 s0, 0
	s_mov_b32 s2, exec_lo
	scratch_load_b32 v1, v1, off
	s_waitcnt vmcnt(0)
	v_cmpx_ne_u32_e32 -1, v1
	s_cbranch_execz .LBB6_59
; %bb.54:                               ;   in Loop: Header=BB6_52 Depth=2
	v_sub_nc_u32_e32 v0, v57, v0
	v_max_i32_e32 v3, 0, v76
	s_delay_alu instid0(VALU_DEP_2) | instskip(NEXT) | instid1(VALU_DEP_2)
	v_or_b32_e32 v2, s72, v0
	v_cmp_le_i32_e64 s0, v3, v0
	s_delay_alu instid0(VALU_DEP_2) | instskip(NEXT) | instid1(VALU_DEP_2)
	v_cmp_ne_u32_e32 vcc_lo, 0, v2
	s_and_b32 s0, s0, vcc_lo
	s_delay_alu instid0(SALU_CYCLE_1)
	s_and_saveexec_b32 s3, s0
	s_cbranch_execz .LBB6_58
; %bb.55:                               ;   in Loop: Header=BB6_52 Depth=2
	v_cmp_ne_u32_e32 vcc_lo, v0, v76
	v_cmp_lt_i32_e64 s0, v1, v77
	s_delay_alu instid0(VALU_DEP_1) | instskip(NEXT) | instid1(SALU_CYCLE_1)
	s_or_b32 s4, vcc_lo, s0
	s_and_saveexec_b32 s0, s4
; %bb.56:                               ;   in Loop: Header=BB6_52 Depth=2
	v_dual_mov_b32 v60, s91 :: v_dual_mov_b32 v59, s102
	v_dual_mov_b32 v76, v0 :: v_dual_mov_b32 v77, v1
; %bb.57:                               ;   in Loop: Header=BB6_52 Depth=2
	s_or_b32 exec_lo, exec_lo, s0
.LBB6_58:                               ;   in Loop: Header=BB6_52 Depth=2
	s_delay_alu instid0(SALU_CYCLE_1) | instskip(NEXT) | instid1(SALU_CYCLE_1)
	s_or_b32 exec_lo, exec_lo, s3
	s_mov_b32 s0, exec_lo
.LBB6_59:                               ;   in Loop: Header=BB6_52 Depth=2
	s_or_b32 exec_lo, exec_lo, s2
	s_mov_b32 s2, -1
	s_or_not1_b32 s3, s0, exec_lo
.LBB6_60:                               ;   in Loop: Header=BB6_52 Depth=2
	s_or_b32 exec_lo, exec_lo, s87
	s_mov_b32 s0, s2
	s_and_saveexec_b32 s4, s3
	s_cbranch_execz .LBB6_51
; %bb.61:                               ;   in Loop: Header=BB6_52 Depth=2
	s_add_i32 s102, s102, 1
	v_add_co_u32 v73, s0, v73, 4
	v_cmp_eq_u32_e32 vcc_lo, s102, v79
	v_add_co_ci_u32_e64 v74, s0, 0, v74, s0
	s_add_i32 s101, s101, -1
	s_and_not1_b32 s0, s2, exec_lo
	s_or_not1_b32 s73, vcc_lo, exec_lo
	s_branch .LBB6_51
.LBB6_62:                               ;   in Loop: Header=BB6_3 Depth=1
	s_or_b32 exec_lo, exec_lo, s100
	s_delay_alu instid0(SALU_CYCLE_1)
	s_and_b32 s1, s104, exec_lo
	s_and_b32 s0, s90, exec_lo
	s_or_not1_b32 s2, s103, exec_lo
	s_movk_i32 s73, 0xe0
	s_mov_b32 s87, s88
.LBB6_63:                               ;   in Loop: Header=BB6_3 Depth=1
	s_or_b32 exec_lo, exec_lo, s99
	s_mov_b32 s3, s97
	s_and_saveexec_b32 s4, s2
	s_cbranch_execz .LBB6_65
; %bb.64:                               ;   in Loop: Header=BB6_3 Depth=1
	global_load_b32 v0, v[40:41], off offset:20
	v_lshlrev_b32_e32 v1, 27, v78
	s_and_not1_b32 s1, s1, exec_lo
	s_and_not1_b32 s0, s0, exec_lo
	s_or_b32 s3, s97, exec_lo
	s_waitcnt vmcnt(0)
	v_and_or_b32 v0, 0x87ffffff, v0, v1
	global_store_b32 v[40:41], v0, off offset:20
.LBB6_65:                               ;   in Loop: Header=BB6_3 Depth=1
	s_or_b32 exec_lo, exec_lo, s4
	s_delay_alu instid0(SALU_CYCLE_1)
	s_and_not1_b32 s2, s62, exec_lo
	s_and_b32 s1, s1, exec_lo
	s_and_b32 s0, s0, exec_lo
	s_or_b32 s62, s2, s1
	s_and_not1_b32 s1, s61, exec_lo
	s_and_not1_b32 s2, s97, exec_lo
	s_and_b32 s3, s3, exec_lo
	s_or_b32 s61, s1, s0
	s_or_b32 s0, s2, s3
.LBB6_66:                               ;   in Loop: Header=BB6_3 Depth=1
	s_or_b32 exec_lo, exec_lo, s63
	s_delay_alu instid0(SALU_CYCLE_1)
	s_and_not1_b32 s2, s97, exec_lo
	s_and_b32 s3, s0, exec_lo
	s_and_b32 s1, s62, exec_lo
	;; [unrolled: 1-line block ×3, first 2 shown]
	s_or_b32 s97, s2, s3
.LBB6_67:                               ;   in Loop: Header=BB6_3 Depth=1
	s_or_b32 exec_lo, exec_lo, s98
	s_delay_alu instid0(SALU_CYCLE_1)
	s_and_b32 s3, s1, exec_lo
	s_and_b32 s2, s0, exec_lo
	s_or_not1_b32 s0, s97, exec_lo
.LBB6_68:                               ;   in Loop: Header=BB6_3 Depth=1
	s_or_b32 exec_lo, exec_lo, s96
	s_delay_alu instid0(SALU_CYCLE_1)
	s_and_not1_b32 s4, s95, exec_lo
	s_and_b32 s3, s3, exec_lo
	s_and_not1_b32 s5, s94, exec_lo
	s_and_b32 s2, s2, exec_lo
	s_mov_b32 s1, -1
	s_or_b32 s95, s4, s3
	s_or_b32 s94, s5, s2
	s_and_saveexec_b32 s2, s0
	s_cbranch_execz .LBB6_2
; %bb.69:                               ;   in Loop: Header=BB6_3 Depth=1
	s_add_i32 s91, s91, 1
	s_delay_alu instid0(SALU_CYCLE_1)
	s_cmp_eq_u32 s91, 8
	s_cselect_b32 s0, -1, 0
	s_and_not1_b32 s95, s95, exec_lo
	s_and_not1_b32 s94, s94, exec_lo
	s_or_not1_b32 s1, s0, exec_lo
	s_branch .LBB6_2
.LBB6_70:
	s_or_b32 exec_lo, exec_lo, s89
	s_xor_b32 s0, s93, -1
	s_xor_b32 s1, s92, -1
	s_mov_b32 s22, 0
	s_and_saveexec_b32 s2, s1
	s_delay_alu instid0(SALU_CYCLE_1)
	s_xor_b32 s21, exec_lo, s2
	s_cbranch_execnz .LBB6_75
; %bb.71:
	s_and_not1_saveexec_b32 s21, s21
	s_cbranch_execnz .LBB6_84
.LBB6_72:
	s_or_b32 exec_lo, exec_lo, s21
	s_delay_alu instid0(SALU_CYCLE_1)
	s_and_b32 exec_lo, exec_lo, s22
.LBB6_73:
	; divergent unreachable
.LBB6_74:
	s_endpgm
.LBB6_75:
	s_and_saveexec_b32 s1, s0
	s_delay_alu instid0(SALU_CYCLE_1)
	s_xor_b32 s0, exec_lo, s1
	s_cbranch_execz .LBB6_81
; %bb.76:
	s_mov_b32 s1, exec_lo
	v_cmpx_ne_u32_e32 -1, v60
	s_xor_b32 s1, exec_lo, s1
	s_cbranch_execz .LBB6_78
; %bb.77:
	v_add_nc_u32_e32 v0, v60, v58
	v_ashrrev_i32_e32 v63, 31, v62
	v_mad_i64_i32 v[10:11], null, v62, 28, s[54:55]
	v_mov_b32_e32 v12, 1
	s_delay_alu instid0(VALU_DEP_4) | instskip(NEXT) | instid1(VALU_DEP_4)
	v_mad_i64_i32 v[4:5], null, v0, 28, s[52:53]
	v_lshlrev_b64 v[8:9], 2, v[62:63]
                                        ; implicit-def: $vgpr62_vgpr63
	s_clause 0x1
	global_load_b128 v[0:3], v[4:5], off offset:12
	global_load_b128 v[4:7], v[4:5], off
	v_add_co_u32 v8, vcc_lo, s40, v8
	v_add_co_ci_u32_e32 v9, vcc_lo, s41, v9, vcc_lo
	s_waitcnt vmcnt(1)
	global_store_b128 v[10:11], v[0:3], off offset:40
	s_waitcnt vmcnt(0)
	s_clause 0x1
	global_store_b128 v[10:11], v[4:7], off offset:28
	global_store_b8 v[10:11], v12, off offset:52
	global_store_b32 v[8:9], v59, off offset:4
.LBB6_78:
	s_and_not1_saveexec_b32 s1, s1
	s_cbranch_execz .LBB6_80
; %bb.79:
	v_mad_i64_i32 v[0:1], null, v62, 28, s[54:55]
	v_mov_b32_e32 v2, 0
	global_store_b8 v[0:1], v2, off offset:52
.LBB6_80:
	s_or_b32 exec_lo, exec_lo, s1
.LBB6_81:
	s_or_saveexec_b32 s22, s0
	s_mov_b32 s0, 0
	s_xor_b32 exec_lo, exec_lo, s22
	s_cbranch_execz .LBB6_83
; %bb.82:
	s_add_u32 s8, s36, 0x68
	s_addc_u32 s9, s37, 0
	s_getpc_b64 s[0:1]
	s_add_u32 s0, s0, .str.2@rel32@lo+4
	s_addc_u32 s1, s1, .str.2@rel32@hi+12
	s_getpc_b64 s[2:3]
	s_add_u32 s2, s2, __PRETTY_FUNCTION__._Z12EvaluateNodeiPiS_S_S_S_S_PN2rw3CutES2_S_PNS0_7LibraryEPNS0_9TableNodeEi@rel32@lo+4
	s_addc_u32 s3, s3, __PRETTY_FUNCTION__._Z12EvaluateNodeiPiS_S_S_S_S_PN2rw3CutES2_S_PNS0_7LibraryEPNS0_9TableNodeEi@rel32@hi+12
	v_dual_mov_b32 v0, s0 :: v_dual_mov_b32 v1, s1
	v_dual_mov_b32 v2, 0x1a6 :: v_dual_mov_b32 v3, s2
	v_mov_b32_e32 v4, s3
	s_getpc_b64 s[4:5]
	s_add_u32 s4, s4, __assert_fail@rel32@lo+4
	s_addc_u32 s5, s5, __assert_fail@rel32@hi+12
	s_delay_alu instid0(SALU_CYCLE_1)
	s_swappc_b64 s[30:31], s[4:5]
	s_mov_b32 s0, exec_lo
.LBB6_83:
	s_or_b32 exec_lo, exec_lo, s22
	s_delay_alu instid0(SALU_CYCLE_1)
	s_and_b32 s22, s0, exec_lo
	s_and_not1_saveexec_b32 s21, s21
	s_cbranch_execz .LBB6_72
.LBB6_84:
	s_add_u32 s8, s36, 0x68
	s_addc_u32 s9, s37, 0
	s_getpc_b64 s[0:1]
	s_add_u32 s0, s0, .str@rel32@lo+4
	s_addc_u32 s1, s1, .str@rel32@hi+12
	s_getpc_b64 s[2:3]
	s_add_u32 s2, s2, __PRETTY_FUNCTION__._Z12EvaluateNodeiPiS_S_S_S_S_PN2rw3CutES2_S_PNS0_7LibraryEPNS0_9TableNodeEi@rel32@lo+4
	s_addc_u32 s3, s3, __PRETTY_FUNCTION__._Z12EvaluateNodeiPiS_S_S_S_S_PN2rw3CutES2_S_PNS0_7LibraryEPNS0_9TableNodeEi@rel32@hi+12
	v_dual_mov_b32 v0, s0 :: v_dual_mov_b32 v1, s1
	v_dual_mov_b32 v2, 0x197 :: v_dual_mov_b32 v3, s2
	v_mov_b32_e32 v4, s3
	s_getpc_b64 s[4:5]
	s_add_u32 s4, s4, __assert_fail@rel32@lo+4
	s_addc_u32 s5, s5, __assert_fail@rel32@hi+12
	s_delay_alu instid0(SALU_CYCLE_1) | instskip(SKIP_2) | instid1(SALU_CYCLE_1)
	s_swappc_b64 s[30:31], s[4:5]
	s_or_b32 s22, s22, exec_lo
	s_or_b32 exec_lo, exec_lo, s21
	s_and_b32 exec_lo, exec_lo, s22
	s_cbranch_execnz .LBB6_73
	s_branch .LBB6_74
	.section	.rodata,"a",@progbits
	.p2align	6, 0x0
	.amdhsa_kernel _Z12EvaluateNodeiPiS_S_S_S_S_PN2rw3CutES2_S_PNS0_7LibraryEPNS0_9TableNodeEi
		.amdhsa_group_segment_fixed_size 36864
		.amdhsa_private_segment_fixed_size 592
		.amdhsa_kernarg_size 360
		.amdhsa_user_sgpr_count 15
		.amdhsa_user_sgpr_dispatch_ptr 1
		.amdhsa_user_sgpr_queue_ptr 0
		.amdhsa_user_sgpr_kernarg_segment_ptr 1
		.amdhsa_user_sgpr_dispatch_id 0
		.amdhsa_user_sgpr_private_segment_size 0
		.amdhsa_wavefront_size32 1
		.amdhsa_uses_dynamic_stack 1
		.amdhsa_enable_private_segment 1
		.amdhsa_system_sgpr_workgroup_id_x 1
		.amdhsa_system_sgpr_workgroup_id_y 0
		.amdhsa_system_sgpr_workgroup_id_z 0
		.amdhsa_system_sgpr_workgroup_info 0
		.amdhsa_system_vgpr_workitem_id 2
		.amdhsa_next_free_vgpr 89
		.amdhsa_next_free_sgpr 105
		.amdhsa_reserve_vcc 1
		.amdhsa_float_round_mode_32 0
		.amdhsa_float_round_mode_16_64 0
		.amdhsa_float_denorm_mode_32 3
		.amdhsa_float_denorm_mode_16_64 3
		.amdhsa_dx10_clamp 1
		.amdhsa_ieee_mode 1
		.amdhsa_fp16_overflow 0
		.amdhsa_workgroup_processor_mode 1
		.amdhsa_memory_ordered 1
		.amdhsa_forward_progress 0
		.amdhsa_shared_vgpr_count 0
		.amdhsa_exception_fp_ieee_invalid_op 0
		.amdhsa_exception_fp_denorm_src 0
		.amdhsa_exception_fp_ieee_div_zero 0
		.amdhsa_exception_fp_ieee_overflow 0
		.amdhsa_exception_fp_ieee_underflow 0
		.amdhsa_exception_fp_ieee_inexact 0
		.amdhsa_exception_int_div_zero 0
	.end_amdhsa_kernel
	.text
.Lfunc_end6:
	.size	_Z12EvaluateNodeiPiS_S_S_S_S_PN2rw3CutES2_S_PNS0_7LibraryEPNS0_9TableNodeEi, .Lfunc_end6-_Z12EvaluateNodeiPiS_S_S_S_S_PN2rw3CutES2_S_PNS0_7LibraryEPNS0_9TableNodeEi
                                        ; -- End function
	.section	.AMDGPU.csdata,"",@progbits
; Kernel info:
; codeLenInByte = 5148
; NumSgprs: 107
; NumVgprs: 89
; ScratchSize: 592
; MemoryBound: 0
; FloatMode: 240
; IeeeMode: 1
; LDSByteSize: 36864 bytes/workgroup (compile time only)
; SGPRBlocks: 13
; VGPRBlocks: 11
; NumSGPRsForWavesPerEU: 107
; NumVGPRsForWavesPerEU: 89
; Occupancy: 16
; WaveLimiterHint : 1
; COMPUTE_PGM_RSRC2:SCRATCH_EN: 1
; COMPUTE_PGM_RSRC2:USER_SGPR: 15
; COMPUTE_PGM_RSRC2:TRAP_HANDLER: 0
; COMPUTE_PGM_RSRC2:TGID_X_EN: 1
; COMPUTE_PGM_RSRC2:TGID_Y_EN: 0
; COMPUTE_PGM_RSRC2:TGID_Z_EN: 0
; COMPUTE_PGM_RSRC2:TIDIG_COMP_CNT: 2
	.text
	.protected	_Z14BuildHashTablePN2rw9TableNodeEiPiS2_S2_S2_ ; -- Begin function _Z14BuildHashTablePN2rw9TableNodeEiPiS2_S2_S2_
	.globl	_Z14BuildHashTablePN2rw9TableNodeEiPiS2_S2_S2_
	.p2align	8
	.type	_Z14BuildHashTablePN2rw9TableNodeEiPiS2_S2_S2_,@function
_Z14BuildHashTablePN2rw9TableNodeEiPiS2_S2_S2_: ; @_Z14BuildHashTablePN2rw9TableNodeEiPiS2_S2_S2_
; %bb.0:
	s_clause 0x1
	s_load_b32 s2, s[0:1], 0x3c
	s_load_b32 s3, s[0:1], 0x8
	s_waitcnt lgkmcnt(0)
	s_and_b32 s2, s2, 0xffff
	s_delay_alu instid0(SALU_CYCLE_1) | instskip(SKIP_1) | instid1(VALU_DEP_1)
	v_mad_u64_u32 v[1:2], null, s15, s2, v[0:1]
	s_mov_b32 s2, exec_lo
	v_cmpx_gt_i32_e64 s3, v1
	s_cbranch_execz .LBB7_8
; %bb.1:
	s_load_b256 s[4:11], s[0:1], 0x10
	v_ashrrev_i32_e32 v2, 31, v1
	s_delay_alu instid0(VALU_DEP_1) | instskip(SKIP_1) | instid1(VALU_DEP_1)
	v_lshlrev_b64 v[2:3], 2, v[1:2]
	s_waitcnt lgkmcnt(0)
	v_add_co_u32 v4, vcc_lo, s4, v2
	s_delay_alu instid0(VALU_DEP_2)
	v_add_co_ci_u32_e32 v5, vcc_lo, s5, v3, vcc_lo
	v_add_co_u32 v6, vcc_lo, s6, v2
	v_add_co_ci_u32_e32 v7, vcc_lo, s7, v3, vcc_lo
	global_load_b32 v0, v[4:5], off offset:4
	global_load_b32 v4, v[6:7], off offset:4
	s_waitcnt vmcnt(0)
	v_or_b32_e32 v5, v0, v4
	s_delay_alu instid0(VALU_DEP_1)
	v_cmp_ne_u32_e32 vcc_lo, 0, v5
	s_and_b32 exec_lo, exec_lo, vcc_lo
	s_cbranch_execz .LBB7_8
; %bb.2:
	v_add_co_u32 v5, vcc_lo, s8, v2
	v_add_co_ci_u32_e32 v6, vcc_lo, s9, v3, vcc_lo
	v_add_co_u32 v2, vcc_lo, s10, v2
	v_add_co_ci_u32_e32 v3, vcc_lo, s11, v3, vcc_lo
	s_getpc_b64 s[2:3]
	s_add_u32 s2, s2, P@rel32@lo+4
	s_addc_u32 s3, s3, P@rel32@hi+12
	global_load_b32 v5, v[5:6], off offset:4
	global_load_b32 v2, v[2:3], off offset:4
	s_load_b64 s[2:3], s[2:3], 0x0
	v_mul_lo_u32 v0, 0x1f01, v0
	v_mul_lo_u32 v3, 0xb9b, v4
	s_delay_alu instid0(VALU_DEP_1)
	v_xor_b32_e32 v0, v3, v0
	v_mov_b32_e32 v3, 0
	s_waitcnt lgkmcnt(0)
	s_load_b32 s3, s[2:3], 0x0
	s_waitcnt lgkmcnt(0)
	s_ashr_i32 s5, s3, 31
	s_waitcnt vmcnt(1)
	v_mul_lo_u32 v4, 0x38f, v5
	s_waitcnt vmcnt(0)
	v_mul_lo_u32 v2, 0x161, v2
	s_delay_alu instid0(VALU_DEP_1) | instskip(NEXT) | instid1(VALU_DEP_1)
	v_xor3_b32 v2, v0, v4, v2
	v_ashrrev_i32_e32 v0, 31, v2
	s_delay_alu instid0(VALU_DEP_1) | instskip(NEXT) | instid1(VALU_DEP_1)
	v_or_b32_e32 v4, s5, v0
	v_cmp_ne_u64_e32 vcc_lo, 0, v[3:4]
                                        ; implicit-def: $vgpr4_vgpr5
	s_and_saveexec_b32 s2, vcc_lo
	s_delay_alu instid0(SALU_CYCLE_1)
	s_xor_b32 s4, exec_lo, s2
	s_cbranch_execz .LBB7_4
; %bb.3:
	v_cvt_f32_u32_e32 v3, s3
	v_cvt_f32_u32_e32 v4, s5
	s_sub_u32 s2, 0, s3
	s_subb_u32 s6, 0, s5
	s_delay_alu instid0(VALU_DEP_1) | instskip(NEXT) | instid1(VALU_DEP_1)
	v_fmamk_f32 v3, v4, 0x4f800000, v3
	v_rcp_f32_e32 v3, v3
	s_waitcnt_depctr 0xfff
	v_mul_f32_e32 v3, 0x5f7ffffc, v3
	s_delay_alu instid0(VALU_DEP_1) | instskip(NEXT) | instid1(VALU_DEP_1)
	v_mul_f32_e32 v4, 0x2f800000, v3
	v_trunc_f32_e32 v4, v4
	s_delay_alu instid0(VALU_DEP_1) | instskip(SKIP_1) | instid1(VALU_DEP_2)
	v_fmamk_f32 v3, v4, 0xcf800000, v3
	v_cvt_u32_f32_e32 v4, v4
	v_cvt_u32_f32_e32 v3, v3
	s_delay_alu instid0(VALU_DEP_2) | instskip(NEXT) | instid1(VALU_DEP_2)
	v_mul_lo_u32 v5, s2, v4
	v_mul_hi_u32 v6, s2, v3
	v_mul_lo_u32 v7, s6, v3
	s_delay_alu instid0(VALU_DEP_2) | instskip(SKIP_1) | instid1(VALU_DEP_2)
	v_add_nc_u32_e32 v5, v6, v5
	v_mul_lo_u32 v6, s2, v3
	v_add_nc_u32_e32 v5, v5, v7
	s_delay_alu instid0(VALU_DEP_2) | instskip(NEXT) | instid1(VALU_DEP_2)
	v_mul_hi_u32 v7, v3, v6
	v_mul_lo_u32 v8, v3, v5
	v_mul_hi_u32 v9, v3, v5
	v_mul_hi_u32 v10, v4, v6
	v_mul_lo_u32 v6, v4, v6
	v_mul_hi_u32 v11, v4, v5
	v_mul_lo_u32 v5, v4, v5
	v_add_co_u32 v7, vcc_lo, v7, v8
	v_add_co_ci_u32_e32 v8, vcc_lo, 0, v9, vcc_lo
	s_delay_alu instid0(VALU_DEP_2) | instskip(NEXT) | instid1(VALU_DEP_2)
	v_add_co_u32 v6, vcc_lo, v7, v6
	v_add_co_ci_u32_e32 v6, vcc_lo, v8, v10, vcc_lo
	v_add_co_ci_u32_e32 v7, vcc_lo, 0, v11, vcc_lo
	s_delay_alu instid0(VALU_DEP_2) | instskip(NEXT) | instid1(VALU_DEP_2)
	v_add_co_u32 v5, vcc_lo, v6, v5
	v_add_co_ci_u32_e32 v6, vcc_lo, 0, v7, vcc_lo
	s_delay_alu instid0(VALU_DEP_2) | instskip(NEXT) | instid1(VALU_DEP_2)
	v_add_co_u32 v3, vcc_lo, v3, v5
	v_add_co_ci_u32_e32 v4, vcc_lo, v4, v6, vcc_lo
	s_delay_alu instid0(VALU_DEP_2) | instskip(SKIP_1) | instid1(VALU_DEP_3)
	v_mul_hi_u32 v5, s2, v3
	v_mul_lo_u32 v7, s6, v3
	v_mul_lo_u32 v6, s2, v4
	s_delay_alu instid0(VALU_DEP_1) | instskip(SKIP_1) | instid1(VALU_DEP_2)
	v_add_nc_u32_e32 v5, v5, v6
	v_mul_lo_u32 v6, s2, v3
	v_add_nc_u32_e32 v5, v5, v7
	s_delay_alu instid0(VALU_DEP_2) | instskip(NEXT) | instid1(VALU_DEP_2)
	v_mul_hi_u32 v7, v3, v6
	v_mul_lo_u32 v8, v3, v5
	v_mul_hi_u32 v9, v3, v5
	v_mul_hi_u32 v10, v4, v6
	v_mul_lo_u32 v6, v4, v6
	v_mul_hi_u32 v11, v4, v5
	v_mul_lo_u32 v5, v4, v5
	v_add_co_u32 v7, vcc_lo, v7, v8
	v_add_co_ci_u32_e32 v8, vcc_lo, 0, v9, vcc_lo
	s_delay_alu instid0(VALU_DEP_2) | instskip(NEXT) | instid1(VALU_DEP_2)
	v_add_co_u32 v6, vcc_lo, v7, v6
	v_add_co_ci_u32_e32 v6, vcc_lo, v8, v10, vcc_lo
	v_add_co_ci_u32_e32 v7, vcc_lo, 0, v11, vcc_lo
	s_delay_alu instid0(VALU_DEP_2) | instskip(NEXT) | instid1(VALU_DEP_2)
	v_add_co_u32 v5, vcc_lo, v6, v5
	v_add_co_ci_u32_e32 v6, vcc_lo, 0, v7, vcc_lo
	s_delay_alu instid0(VALU_DEP_2) | instskip(NEXT) | instid1(VALU_DEP_2)
	v_add_co_u32 v7, vcc_lo, v3, v5
	v_add_co_ci_u32_e32 v9, vcc_lo, v4, v6, vcc_lo
	s_delay_alu instid0(VALU_DEP_2) | instskip(SKIP_1) | instid1(VALU_DEP_3)
	v_mul_hi_u32 v10, v2, v7
	v_mad_u64_u32 v[5:6], null, v0, v7, 0
	v_mad_u64_u32 v[3:4], null, v2, v9, 0
	;; [unrolled: 1-line block ×3, first 2 shown]
	s_delay_alu instid0(VALU_DEP_2) | instskip(NEXT) | instid1(VALU_DEP_3)
	v_add_co_u32 v3, vcc_lo, v10, v3
	v_add_co_ci_u32_e32 v4, vcc_lo, 0, v4, vcc_lo
	s_delay_alu instid0(VALU_DEP_2) | instskip(NEXT) | instid1(VALU_DEP_2)
	v_add_co_u32 v3, vcc_lo, v3, v5
	v_add_co_ci_u32_e32 v3, vcc_lo, v4, v6, vcc_lo
	v_add_co_ci_u32_e32 v4, vcc_lo, 0, v8, vcc_lo
	s_delay_alu instid0(VALU_DEP_2) | instskip(NEXT) | instid1(VALU_DEP_2)
	v_add_co_u32 v5, vcc_lo, v3, v7
	v_add_co_ci_u32_e32 v6, vcc_lo, 0, v4, vcc_lo
	s_delay_alu instid0(VALU_DEP_2) | instskip(SKIP_1) | instid1(VALU_DEP_3)
	v_mul_lo_u32 v7, s5, v5
	v_mad_u64_u32 v[3:4], null, s3, v5, 0
	v_mul_lo_u32 v5, s3, v6
	s_delay_alu instid0(VALU_DEP_2) | instskip(NEXT) | instid1(VALU_DEP_2)
	v_sub_co_u32 v2, vcc_lo, v2, v3
	v_add3_u32 v4, v4, v5, v7
	s_delay_alu instid0(VALU_DEP_1) | instskip(NEXT) | instid1(VALU_DEP_1)
	v_sub_nc_u32_e32 v5, v0, v4
	v_subrev_co_ci_u32_e64 v3, s2, s5, v5, vcc_lo
	v_sub_co_ci_u32_e32 v0, vcc_lo, v0, v4, vcc_lo
	v_sub_co_u32 v4, vcc_lo, v2, s3
	s_delay_alu instid0(VALU_DEP_1) | instskip(SKIP_3) | instid1(VALU_DEP_3)
	v_subrev_co_ci_u32_e64 v5, s2, 0, v3, vcc_lo
	v_cmp_le_u32_e64 s2, s3, v2
	v_subrev_co_ci_u32_e32 v3, vcc_lo, s5, v3, vcc_lo
	v_cmp_le_u32_e32 vcc_lo, s5, v0
	v_cndmask_b32_e64 v6, 0, -1, s2
	v_cmp_le_u32_e64 s2, s3, v4
	v_cndmask_b32_e64 v9, 0, -1, vcc_lo
	v_cmp_eq_u32_e32 vcc_lo, s5, v5
	s_delay_alu instid0(VALU_DEP_3) | instskip(SKIP_1) | instid1(VALU_DEP_1)
	v_cndmask_b32_e64 v7, 0, -1, s2
	v_cmp_le_u32_e64 s2, s5, v5
	v_cndmask_b32_e64 v8, 0, -1, s2
	v_cmp_eq_u32_e64 s2, s5, v0
	s_delay_alu instid0(VALU_DEP_2) | instskip(SKIP_2) | instid1(VALU_DEP_3)
	v_cndmask_b32_e32 v7, v8, v7, vcc_lo
	v_sub_co_u32 v8, vcc_lo, v4, s3
	v_subrev_co_ci_u32_e32 v3, vcc_lo, 0, v3, vcc_lo
	v_cmp_ne_u32_e32 vcc_lo, 0, v7
	v_cndmask_b32_e64 v6, v9, v6, s2
	s_delay_alu instid0(VALU_DEP_3) | instskip(NEXT) | instid1(VALU_DEP_2)
	v_dual_cndmask_b32 v3, v5, v3 :: v_dual_cndmask_b32 v4, v4, v8
	v_cmp_ne_u32_e32 vcc_lo, 0, v6
	s_delay_alu instid0(VALU_DEP_2)
	v_dual_cndmask_b32 v5, v0, v3 :: v_dual_cndmask_b32 v4, v2, v4
                                        ; implicit-def: $vgpr2_vgpr3
.LBB7_4:
	s_and_not1_saveexec_b32 s2, s4
	s_cbranch_execz .LBB7_6
; %bb.5:
	v_cvt_f32_u32_e32 v0, s3
	s_sub_i32 s4, 0, s3
	v_mov_b32_e32 v5, 0
	s_delay_alu instid0(VALU_DEP_2) | instskip(SKIP_2) | instid1(VALU_DEP_1)
	v_rcp_iflag_f32_e32 v0, v0
	s_waitcnt_depctr 0xfff
	v_mul_f32_e32 v0, 0x4f7ffffe, v0
	v_cvt_u32_f32_e32 v0, v0
	s_delay_alu instid0(VALU_DEP_1) | instskip(NEXT) | instid1(VALU_DEP_1)
	v_mul_lo_u32 v3, s4, v0
	v_mul_hi_u32 v3, v0, v3
	s_delay_alu instid0(VALU_DEP_1) | instskip(NEXT) | instid1(VALU_DEP_1)
	v_add_nc_u32_e32 v0, v0, v3
	v_mul_hi_u32 v0, v2, v0
	s_delay_alu instid0(VALU_DEP_1) | instskip(NEXT) | instid1(VALU_DEP_1)
	v_mul_lo_u32 v0, v0, s3
	v_sub_nc_u32_e32 v0, v2, v0
	s_delay_alu instid0(VALU_DEP_1) | instskip(SKIP_1) | instid1(VALU_DEP_2)
	v_subrev_nc_u32_e32 v2, s3, v0
	v_cmp_le_u32_e32 vcc_lo, s3, v0
	v_cndmask_b32_e32 v0, v0, v2, vcc_lo
	s_delay_alu instid0(VALU_DEP_1) | instskip(SKIP_1) | instid1(VALU_DEP_2)
	v_subrev_nc_u32_e32 v2, s3, v0
	v_cmp_le_u32_e32 vcc_lo, s3, v0
	v_cndmask_b32_e32 v4, v0, v2, vcc_lo
.LBB7_6:
	s_or_b32 exec_lo, exec_lo, s2
	s_load_b64 s[0:1], s[0:1], 0x0
	v_add_nc_u32_e32 v2, s3, v1
	v_add_nc_u32_e32 v8, 1, v1
	v_mov_b32_e32 v0, 0
	s_mov_b32 s2, 0
	s_getpc_b64 s[4:5]
	s_add_u32 s4, s4, P@rel32@lo+4
	s_addc_u32 s5, s5, P@rel32@hi+12
	v_ashrrev_i32_e32 v3, 31, v2
	s_delay_alu instid0(VALU_DEP_1) | instskip(SKIP_1) | instid1(VALU_DEP_1)
	v_lshlrev_b64 v[2:3], 3, v[2:3]
	s_waitcnt lgkmcnt(0)
	v_add_co_u32 v6, vcc_lo, s0, v2
	s_delay_alu instid0(VALU_DEP_2)
	v_add_co_ci_u32_e32 v7, vcc_lo, s1, v3, vcc_lo
	v_mov_b32_e32 v3, -1
	global_store_b32 v[6:7], v8, off
	.p2align	6
.LBB7_7:                                ; =>This Inner Loop Header: Depth=1
	global_load_b64 v[6:7], v0, s[4:5]
	v_lshlrev_b64 v[4:5], 3, v[4:5]
	s_delay_alu instid0(VALU_DEP_1) | instskip(NEXT) | instid1(VALU_DEP_2)
	v_add_co_u32 v4, vcc_lo, s0, v4
	v_add_co_ci_u32_e32 v5, vcc_lo, s1, v5, vcc_lo
	s_waitcnt vmcnt(0)
	global_load_b32 v2, v[6:7], off
	s_waitcnt vmcnt(0)
	v_add_nc_u32_e32 v2, v2, v1
	global_atomic_cmpswap_b32 v4, v[4:5], v[2:3], off offset:4 glc
	s_waitcnt vmcnt(0)
	v_cmp_eq_u32_e32 vcc_lo, -1, v4
	v_ashrrev_i32_e32 v5, 31, v4
	s_or_b32 s2, vcc_lo, s2
	s_delay_alu instid0(SALU_CYCLE_1)
	s_and_not1_b32 exec_lo, exec_lo, s2
	s_cbranch_execnz .LBB7_7
.LBB7_8:
	s_nop 0
	s_sendmsg sendmsg(MSG_DEALLOC_VGPRS)
	s_endpgm
	.section	.rodata,"a",@progbits
	.p2align	6, 0x0
	.amdhsa_kernel _Z14BuildHashTablePN2rw9TableNodeEiPiS2_S2_S2_
		.amdhsa_group_segment_fixed_size 0
		.amdhsa_private_segment_fixed_size 0
		.amdhsa_kernarg_size 304
		.amdhsa_user_sgpr_count 15
		.amdhsa_user_sgpr_dispatch_ptr 0
		.amdhsa_user_sgpr_queue_ptr 0
		.amdhsa_user_sgpr_kernarg_segment_ptr 1
		.amdhsa_user_sgpr_dispatch_id 0
		.amdhsa_user_sgpr_private_segment_size 0
		.amdhsa_wavefront_size32 1
		.amdhsa_uses_dynamic_stack 0
		.amdhsa_enable_private_segment 0
		.amdhsa_system_sgpr_workgroup_id_x 1
		.amdhsa_system_sgpr_workgroup_id_y 0
		.amdhsa_system_sgpr_workgroup_id_z 0
		.amdhsa_system_sgpr_workgroup_info 0
		.amdhsa_system_vgpr_workitem_id 0
		.amdhsa_next_free_vgpr 12
		.amdhsa_next_free_sgpr 16
		.amdhsa_reserve_vcc 1
		.amdhsa_float_round_mode_32 0
		.amdhsa_float_round_mode_16_64 0
		.amdhsa_float_denorm_mode_32 3
		.amdhsa_float_denorm_mode_16_64 3
		.amdhsa_dx10_clamp 1
		.amdhsa_ieee_mode 1
		.amdhsa_fp16_overflow 0
		.amdhsa_workgroup_processor_mode 1
		.amdhsa_memory_ordered 1
		.amdhsa_forward_progress 0
		.amdhsa_shared_vgpr_count 0
		.amdhsa_exception_fp_ieee_invalid_op 0
		.amdhsa_exception_fp_denorm_src 0
		.amdhsa_exception_fp_ieee_div_zero 0
		.amdhsa_exception_fp_ieee_overflow 0
		.amdhsa_exception_fp_ieee_underflow 0
		.amdhsa_exception_fp_ieee_inexact 0
		.amdhsa_exception_int_div_zero 0
	.end_amdhsa_kernel
	.text
.Lfunc_end7:
	.size	_Z14BuildHashTablePN2rw9TableNodeEiPiS2_S2_S2_, .Lfunc_end7-_Z14BuildHashTablePN2rw9TableNodeEiPiS2_S2_S2_
                                        ; -- End function
	.section	.AMDGPU.csdata,"",@progbits
; Kernel info:
; codeLenInByte = 1420
; NumSgprs: 18
; NumVgprs: 12
; ScratchSize: 0
; MemoryBound: 0
; FloatMode: 240
; IeeeMode: 1
; LDSByteSize: 0 bytes/workgroup (compile time only)
; SGPRBlocks: 2
; VGPRBlocks: 1
; NumSGPRsForWavesPerEU: 18
; NumVGPRsForWavesPerEU: 12
; Occupancy: 16
; WaveLimiterHint : 1
; COMPUTE_PGM_RSRC2:SCRATCH_EN: 0
; COMPUTE_PGM_RSRC2:USER_SGPR: 15
; COMPUTE_PGM_RSRC2:TRAP_HANDLER: 0
; COMPUTE_PGM_RSRC2:TGID_X_EN: 1
; COMPUTE_PGM_RSRC2:TGID_Y_EN: 0
; COMPUTE_PGM_RSRC2:TGID_Z_EN: 0
; COMPUTE_PGM_RSRC2:TIDIG_COMP_CNT: 0
	.text
	.p2align	2                               ; -- Begin function _Z10BuildSubgriiPN2rw7LibraryEPimS2_S2_S2_S2_S2_PNS_9TableNodeEi
	.type	_Z10BuildSubgriiPN2rw7LibraryEPimS2_S2_S2_S2_S2_PNS_9TableNodeEi,@function
_Z10BuildSubgriiPN2rw7LibraryEPimS2_S2_S2_S2_S2_PNS_9TableNodeEi: ; @_Z10BuildSubgriiPN2rw7LibraryEPimS2_S2_S2_S2_S2_PNS_9TableNodeEi
; %bb.0:
	s_waitcnt vmcnt(0) expcnt(0) lgkmcnt(0)
	s_mov_b32 s0, s33
	s_mov_b32 s33, s32
	s_or_saveexec_b32 s1, -1
	scratch_store_b32 off, v90, s33 offset:104 ; 4-byte Folded Spill
	s_mov_b32 exec_lo, s1
	v_writelane_b32 v90, s0, 5
	s_addk_i32 s32, 0x70
	s_clause 0x19
	scratch_store_b32 off, v40, s33 offset:100
	; meta instruction
	scratch_store_b32 off, v41, s33 offset:96
	; meta instruction
	;; [unrolled: 2-line block ×25, first 2 shown]
	scratch_store_b32 off, v89, s33
	v_writelane_b32 v90, s34, 0
	v_writelane_b32 v90, s36, 1
	;; [unrolled: 1-line block ×5, first 2 shown]
	v_mov_b32_e32 v43, v1
	v_ashrrev_i32_e32 v1, 31, v0
	v_dual_mov_b32 v46, v3 :: v_dual_mov_b32 v45, v2
	v_dual_mov_b32 v77, v4 :: v_dual_mov_b32 v56, v18
	s_delay_alu instid0(VALU_DEP_3) | instskip(SKIP_3) | instid1(VALU_DEP_4)
	v_lshlrev_b64 v[1:2], 2, v[0:1]
	v_dual_mov_b32 v73, v20 :: v_dual_mov_b32 v76, v5
	v_dual_mov_b32 v47, v19 :: v_dual_mov_b32 v74, v17
	;; [unrolled: 1-line block ×3, first 2 shown]
	v_add_co_u32 v78, vcc_lo, v77, v1
	s_delay_alu instid0(VALU_DEP_4)
	v_add_co_ci_u32_e32 v79, vcc_lo, v76, v2, vcc_lo
	v_dual_mov_b32 v57, v15 :: v_dual_mov_b32 v60, v12
	v_dual_mov_b32 v59, v13 :: v_dual_mov_b32 v62, v10
	flat_load_b32 v1, v[78:79]
	v_dual_mov_b32 v61, v11 :: v_dual_mov_b32 v72, v8
	v_dual_mov_b32 v63, v9 :: v_dual_mov_b32 v40, v6
	v_mov_b32_e32 v41, v7
	s_mov_b32 s34, exec_lo
	s_waitcnt vmcnt(0) lgkmcnt(0)
	v_cmpx_eq_u32_e32 -1, v1
	s_cbranch_execz .LBB8_36
; %bb.1:
	v_add_nc_u32_e32 v0, -4, v0
	v_mad_i64_i32 v[2:3], null, 0xf0, v43, v[45:46]
	v_dual_mov_b32 v4, v77 :: v_dual_mov_b32 v5, v76
	s_delay_alu instid0(VALU_DEP_3) | instskip(SKIP_2) | instid1(VALU_DEP_3)
	v_ashrrev_i32_e32 v1, 31, v0
	v_dual_mov_b32 v6, v40 :: v_dual_mov_b32 v7, v41
	v_dual_mov_b32 v8, v72 :: v_dual_mov_b32 v9, v63
	v_lshlrev_b64 v[0:1], 2, v[0:1]
	v_dual_mov_b32 v10, v62 :: v_dual_mov_b32 v11, v61
	v_dual_mov_b32 v12, v60 :: v_dual_mov_b32 v13, v59
	;; [unrolled: 1-line block ×3, first 2 shown]
	s_delay_alu instid0(VALU_DEP_4) | instskip(SKIP_2) | instid1(VALU_DEP_3)
	v_add_co_u32 v88, vcc_lo, v2, v0
	v_add_co_ci_u32_e32 v89, vcc_lo, v3, v1, vcc_lo
	v_dual_mov_b32 v2, v45 :: v_dual_mov_b32 v3, v46
	v_add_co_u32 v0, vcc_lo, 0xc4000, v88
	s_delay_alu instid0(VALU_DEP_3)
	v_add_co_ci_u32_e32 v1, vcc_lo, 0, v89, vcc_lo
	v_dual_mov_b32 v16, v75 :: v_dual_mov_b32 v17, v74
	v_dual_mov_b32 v18, v56 :: v_dual_mov_b32 v19, v47
	flat_load_b32 v44, v[0:1] offset:3536
	v_add_co_u32 v0, vcc_lo, 0xd1000, v88
	v_add_co_ci_u32_e32 v1, vcc_lo, 0, v89, vcc_lo
	v_mov_b32_e32 v20, v73
	s_getpc_b64 s[36:37]
	s_add_u32 s36, s36, _Z10BuildSubgriiPN2rw7LibraryEPimS2_S2_S2_S2_S2_PNS_9TableNodeEi@rel32@lo+4
	s_addc_u32 s37, s37, _Z10BuildSubgriiPN2rw7LibraryEPimS2_S2_S2_S2_S2_PNS_9TableNodeEi@rel32@hi+12
	flat_load_b32 v42, v[0:1] offset:3568
	s_waitcnt vmcnt(1) lgkmcnt(1)
	v_dual_mov_b32 v1, v43 :: v_dual_mov_b32 v0, v44
	s_swappc_b64 s[30:31], s[36:37]
	v_dual_mov_b32 v0, v42 :: v_dual_mov_b32 v1, v43
	v_dual_mov_b32 v2, v45 :: v_dual_mov_b32 v3, v46
	v_dual_mov_b32 v4, v77 :: v_dual_mov_b32 v5, v76
	v_dual_mov_b32 v6, v40 :: v_dual_mov_b32 v7, v41
	v_dual_mov_b32 v8, v72 :: v_dual_mov_b32 v9, v63
	v_dual_mov_b32 v10, v62 :: v_dual_mov_b32 v11, v61
	v_dual_mov_b32 v12, v60 :: v_dual_mov_b32 v13, v59
	v_dual_mov_b32 v14, v58 :: v_dual_mov_b32 v15, v57
	v_dual_mov_b32 v16, v75 :: v_dual_mov_b32 v17, v74
	v_dual_mov_b32 v18, v56 :: v_dual_mov_b32 v19, v47
	v_mov_b32_e32 v20, v73
	s_swappc_b64 s[30:31], s[36:37]
	s_mov_b32 s0, exec_lo
	s_mov_b32 s1, exec_lo
	v_mbcnt_lo_u32_b32 v0, s0, 0
                                        ; implicit-def: $vgpr1
	s_delay_alu instid0(VALU_DEP_1)
	v_cmpx_eq_u32_e32 0, v0
	s_cbranch_execz .LBB8_3
; %bb.2:
	v_mov_b32_e32 v1, 0
	s_getpc_b64 s[2:3]
	s_add_u32 s2, s2, N@rel32@lo+4
	s_addc_u32 s3, s3, N@rel32@hi+12
	s_bcnt1_i32_b32 s0, s0
	s_delay_alu instid0(SALU_CYCLE_1)
	v_mov_b32_e32 v3, s0
	global_load_b64 v[1:2], v1, s[2:3]
	s_waitcnt vmcnt(0)
	global_atomic_add_u32 v1, v[1:2], v3, off glc
.LBB8_3:
	s_or_b32 exec_lo, exec_lo, s1
	v_ashrrev_i32_e32 v45, 31, v44
	s_waitcnt vmcnt(0)
	v_readfirstlane_b32 s0, v1
	v_ashrrev_i32_e32 v43, 31, v42
	s_delay_alu instid0(VALU_DEP_3) | instskip(NEXT) | instid1(VALU_DEP_3)
	v_lshlrev_b64 v[2:3], 2, v[44:45]
	v_add_nc_u32_e32 v6, s0, v0
	s_mov_b32 s0, exec_lo
	s_delay_alu instid0(VALU_DEP_1) | instskip(NEXT) | instid1(VALU_DEP_3)
	v_ashrrev_i32_e32 v7, 31, v6
	v_add_co_u32 v2, vcc_lo, v77, v2
	s_delay_alu instid0(VALU_DEP_4) | instskip(NEXT) | instid1(VALU_DEP_3)
	v_add_co_ci_u32_e32 v3, vcc_lo, v76, v3, vcc_lo
	v_lshlrev_b64 v[9:10], 2, v[6:7]
	flat_load_b32 v4, v[2:3]
	v_lshlrev_b64 v[2:3], 2, v[42:43]
	v_add_co_u32 v0, vcc_lo, v72, v9
	v_add_co_ci_u32_e32 v1, vcc_lo, v63, v10, vcc_lo
	s_delay_alu instid0(VALU_DEP_3) | instskip(NEXT) | instid1(VALU_DEP_4)
	v_add_co_u32 v2, vcc_lo, v77, v2
	v_add_co_ci_u32_e32 v3, vcc_lo, v76, v3, vcc_lo
	s_waitcnt vmcnt(0) lgkmcnt(0)
	flat_store_b32 v[0:1], v4 offset:4
	flat_load_b32 v7, v[2:3]
	v_add_co_u32 v2, vcc_lo, v62, v9
	v_add_co_ci_u32_e32 v3, vcc_lo, v61, v10, vcc_lo
	v_add_co_u32 v4, vcc_lo, 0xde000, v88
	v_add_co_ci_u32_e32 v5, vcc_lo, 0, v89, vcc_lo
	s_waitcnt vmcnt(0) lgkmcnt(0)
	flat_store_b32 v[2:3], v7 offset:4
	flat_load_b32 v7, v[4:5] offset:3600
	v_lshrrev_b64 v[4:5], v44, v[40:41]
	s_delay_alu instid0(VALU_DEP_1) | instskip(SKIP_3) | instid1(VALU_DEP_3)
	v_and_b32_e32 v8, 1, v4
	v_add_co_u32 v4, vcc_lo, v60, v9
	v_add_co_ci_u32_e32 v5, vcc_lo, v59, v10, vcc_lo
	s_waitcnt vmcnt(0) lgkmcnt(0)
	v_xor_b32_e32 v11, v7, v8
	v_add_co_u32 v7, vcc_lo, 0xeb000, v88
	v_add_co_ci_u32_e32 v8, vcc_lo, 0, v89, vcc_lo
	flat_store_b32 v[4:5], v11 offset:4
	flat_load_b32 v11, v[7:8] offset:3632
	v_lshrrev_b64 v[7:8], v42, v[40:41]
	s_delay_alu instid0(VALU_DEP_1) | instskip(SKIP_3) | instid1(VALU_DEP_3)
	v_and_b32_e32 v12, 1, v7
	v_add_co_u32 v7, vcc_lo, v58, v9
	v_add_co_ci_u32_e32 v8, vcc_lo, v57, v10, vcc_lo
	s_waitcnt vmcnt(0) lgkmcnt(0)
	v_xor_b32_e32 v15, v11, v12
	flat_store_b32 v[7:8], v15 offset:4
	flat_load_b32 v11, v[0:1] offset:4
	flat_load_b32 v13, v[2:3] offset:4
	s_waitcnt vmcnt(1) lgkmcnt(1)
	v_ashrrev_i32_e32 v12, 31, v11
	s_waitcnt vmcnt(0) lgkmcnt(0)
	v_ashrrev_i32_e32 v14, 31, v13
	s_delay_alu instid0(VALU_DEP_2) | instskip(NEXT) | instid1(VALU_DEP_2)
	v_lshlrev_b64 v[11:12], 2, v[11:12]
	v_lshlrev_b64 v[13:14], 2, v[13:14]
	s_delay_alu instid0(VALU_DEP_2) | instskip(NEXT) | instid1(VALU_DEP_3)
	v_add_co_u32 v11, vcc_lo, v75, v11
	v_add_co_ci_u32_e32 v12, vcc_lo, v74, v12, vcc_lo
	s_delay_alu instid0(VALU_DEP_3) | instskip(NEXT) | instid1(VALU_DEP_4)
	v_add_co_u32 v13, vcc_lo, v75, v13
	v_add_co_ci_u32_e32 v14, vcc_lo, v74, v14, vcc_lo
	flat_load_b32 v16, v[4:5] offset:4
	s_clause 0x1
	flat_load_b32 v11, v[11:12]
	flat_load_b32 v12, v[13:14]
	v_add_co_u32 v9, vcc_lo, v75, v9
	v_add_co_ci_u32_e32 v10, vcc_lo, v74, v10, vcc_lo
	s_waitcnt vmcnt(1) lgkmcnt(1)
	v_xor_b32_e32 v11, v16, v11
	s_waitcnt vmcnt(0) lgkmcnt(0)
	v_xor_b32_e32 v12, v12, v15
	s_delay_alu instid0(VALU_DEP_1)
	v_and_b32_e32 v11, v12, v11
	flat_store_b32 v[9:10], v11 offset:4
	flat_load_b32 v9, v[0:1] offset:4
	flat_load_b32 v10, v[2:3] offset:4
                                        ; implicit-def: $vgpr11
	s_waitcnt vmcnt(0) lgkmcnt(0)
	v_cmpx_le_i32_e64 v9, v10
	s_xor_b32 s0, exec_lo, s0
	s_cbranch_execz .LBB8_5
; %bb.4:
	flat_load_b32 v11, v[7:8] offset:4
.LBB8_5:
	s_and_not1_saveexec_b32 s0, s0
	s_cbranch_execz .LBB8_7
; %bb.6:
	flat_store_b32 v[0:1], v10 offset:4
	flat_store_b32 v[2:3], v9 offset:4
	flat_load_b32 v9, v[7:8] offset:4
	s_waitcnt vmcnt(1) lgkmcnt(3)
	flat_load_b32 v11, v[4:5] offset:4
	s_waitcnt vmcnt(1) lgkmcnt(1)
	flat_store_b32 v[4:5], v9 offset:4
	s_waitcnt vmcnt(0) lgkmcnt(1)
	flat_store_b32 v[7:8], v11 offset:4
	flat_load_b32 v9, v[0:1] offset:4
	flat_load_b32 v10, v[2:3] offset:4
.LBB8_7:
	s_or_b32 exec_lo, exec_lo, s0
	v_mov_b32_e32 v15, 0
	s_getpc_b64 s[0:1]
	s_add_u32 s0, s0, P@rel32@lo+4
	s_addc_u32 s1, s1, P@rel32@hi+12
	s_waitcnt vmcnt(1) lgkmcnt(1)
	v_mul_lo_u32 v9, 0x1f01, v9
	s_waitcnt vmcnt(0) lgkmcnt(0)
	v_mul_lo_u32 v10, 0xb9b, v10
	v_mul_lo_u32 v11, 0x161, v11
	global_load_b64 v[12:13], v15, s[0:1]
	flat_load_b32 v14, v[4:5] offset:4
	s_mov_b32 s0, exec_lo
	v_xor_b32_e32 v9, v10, v9
	s_waitcnt vmcnt(1)
	global_load_b32 v13, v[12:13], off
	s_waitcnt vmcnt(1) lgkmcnt(0)
	v_mul_lo_u32 v12, 0x38f, v14
	s_delay_alu instid0(VALU_DEP_1) | instskip(NEXT) | instid1(VALU_DEP_1)
	v_xor3_b32 v9, v9, v12, v11
                                        ; implicit-def: $vgpr11_vgpr12
	v_ashrrev_i32_e32 v14, 31, v9
	s_waitcnt vmcnt(0)
	v_ashrrev_i32_e32 v10, 31, v13
	s_delay_alu instid0(VALU_DEP_1) | instskip(NEXT) | instid1(VALU_DEP_1)
	v_or_b32_e32 v16, v14, v10
	v_cmpx_ne_u64_e32 0, v[15:16]
	s_xor_b32 s1, exec_lo, s0
	s_cbranch_execz .LBB8_9
; %bb.8:
	v_cvt_f32_u32_e32 v11, v13
	v_cvt_f32_u32_e32 v12, v10
	v_sub_co_u32 v15, vcc_lo, 0, v13
	v_sub_co_ci_u32_e32 v16, vcc_lo, 0, v10, vcc_lo
	s_delay_alu instid0(VALU_DEP_3) | instskip(NEXT) | instid1(VALU_DEP_1)
	v_fmamk_f32 v11, v12, 0x4f800000, v11
	v_rcp_f32_e32 v11, v11
	s_waitcnt_depctr 0xfff
	v_mul_f32_e32 v11, 0x5f7ffffc, v11
	s_delay_alu instid0(VALU_DEP_1) | instskip(NEXT) | instid1(VALU_DEP_1)
	v_mul_f32_e32 v12, 0x2f800000, v11
	v_trunc_f32_e32 v12, v12
	s_delay_alu instid0(VALU_DEP_1) | instskip(SKIP_1) | instid1(VALU_DEP_2)
	v_fmamk_f32 v11, v12, 0xcf800000, v11
	v_cvt_u32_f32_e32 v12, v12
	v_cvt_u32_f32_e32 v11, v11
	s_delay_alu instid0(VALU_DEP_2) | instskip(NEXT) | instid1(VALU_DEP_2)
	v_mul_lo_u32 v17, v15, v12
	v_mul_hi_u32 v18, v15, v11
	v_mul_lo_u32 v19, v16, v11
	s_delay_alu instid0(VALU_DEP_2) | instskip(SKIP_1) | instid1(VALU_DEP_2)
	v_add_nc_u32_e32 v17, v18, v17
	v_mul_lo_u32 v18, v15, v11
	v_add_nc_u32_e32 v17, v17, v19
	s_delay_alu instid0(VALU_DEP_2) | instskip(NEXT) | instid1(VALU_DEP_2)
	v_mul_hi_u32 v19, v11, v18
	v_mul_lo_u32 v20, v11, v17
	v_mul_hi_u32 v21, v11, v17
	v_mul_hi_u32 v22, v12, v18
	v_mul_lo_u32 v18, v12, v18
	v_mul_hi_u32 v23, v12, v17
	v_mul_lo_u32 v17, v12, v17
	v_add_co_u32 v19, vcc_lo, v19, v20
	v_add_co_ci_u32_e32 v20, vcc_lo, 0, v21, vcc_lo
	s_delay_alu instid0(VALU_DEP_2) | instskip(NEXT) | instid1(VALU_DEP_2)
	v_add_co_u32 v18, vcc_lo, v19, v18
	v_add_co_ci_u32_e32 v18, vcc_lo, v20, v22, vcc_lo
	v_add_co_ci_u32_e32 v19, vcc_lo, 0, v23, vcc_lo
	s_delay_alu instid0(VALU_DEP_2) | instskip(NEXT) | instid1(VALU_DEP_2)
	v_add_co_u32 v17, vcc_lo, v18, v17
	v_add_co_ci_u32_e32 v18, vcc_lo, 0, v19, vcc_lo
	s_delay_alu instid0(VALU_DEP_2) | instskip(NEXT) | instid1(VALU_DEP_2)
	v_add_co_u32 v11, vcc_lo, v11, v17
	v_add_co_ci_u32_e32 v12, vcc_lo, v12, v18, vcc_lo
	s_delay_alu instid0(VALU_DEP_2) | instskip(SKIP_1) | instid1(VALU_DEP_3)
	v_mul_hi_u32 v17, v15, v11
	v_mul_lo_u32 v16, v16, v11
	v_mul_lo_u32 v18, v15, v12
	;; [unrolled: 1-line block ×3, first 2 shown]
	s_delay_alu instid0(VALU_DEP_2) | instskip(NEXT) | instid1(VALU_DEP_2)
	v_add_nc_u32_e32 v17, v17, v18
	v_mul_hi_u32 v20, v12, v15
	s_delay_alu instid0(VALU_DEP_2) | instskip(SKIP_2) | instid1(VALU_DEP_3)
	v_add_nc_u32_e32 v16, v17, v16
	v_mul_hi_u32 v17, v11, v15
	v_mul_lo_u32 v15, v12, v15
	v_mul_lo_u32 v18, v11, v16
	v_mul_hi_u32 v19, v11, v16
	v_mul_hi_u32 v21, v12, v16
	v_mul_lo_u32 v16, v12, v16
	s_delay_alu instid0(VALU_DEP_4) | instskip(NEXT) | instid1(VALU_DEP_4)
	v_add_co_u32 v17, vcc_lo, v17, v18
	v_add_co_ci_u32_e32 v18, vcc_lo, 0, v19, vcc_lo
	s_delay_alu instid0(VALU_DEP_2) | instskip(NEXT) | instid1(VALU_DEP_2)
	v_add_co_u32 v15, vcc_lo, v17, v15
	v_add_co_ci_u32_e32 v15, vcc_lo, v18, v20, vcc_lo
	v_add_co_ci_u32_e32 v17, vcc_lo, 0, v21, vcc_lo
	s_delay_alu instid0(VALU_DEP_2) | instskip(NEXT) | instid1(VALU_DEP_2)
	v_add_co_u32 v15, vcc_lo, v15, v16
	v_add_co_ci_u32_e32 v16, vcc_lo, 0, v17, vcc_lo
	s_delay_alu instid0(VALU_DEP_2) | instskip(NEXT) | instid1(VALU_DEP_2)
	v_add_co_u32 v17, vcc_lo, v11, v15
	v_add_co_ci_u32_e32 v19, vcc_lo, v12, v16, vcc_lo
	s_delay_alu instid0(VALU_DEP_2) | instskip(SKIP_1) | instid1(VALU_DEP_3)
	v_mul_hi_u32 v20, v9, v17
	v_mad_u64_u32 v[15:16], null, v14, v17, 0
	v_mad_u64_u32 v[11:12], null, v9, v19, 0
	;; [unrolled: 1-line block ×3, first 2 shown]
	s_delay_alu instid0(VALU_DEP_2) | instskip(NEXT) | instid1(VALU_DEP_3)
	v_add_co_u32 v11, vcc_lo, v20, v11
	v_add_co_ci_u32_e32 v12, vcc_lo, 0, v12, vcc_lo
	s_delay_alu instid0(VALU_DEP_2) | instskip(NEXT) | instid1(VALU_DEP_2)
	v_add_co_u32 v11, vcc_lo, v11, v15
	v_add_co_ci_u32_e32 v11, vcc_lo, v12, v16, vcc_lo
	v_add_co_ci_u32_e32 v12, vcc_lo, 0, v18, vcc_lo
	s_delay_alu instid0(VALU_DEP_2) | instskip(NEXT) | instid1(VALU_DEP_2)
	v_add_co_u32 v15, vcc_lo, v11, v17
	v_add_co_ci_u32_e32 v16, vcc_lo, 0, v12, vcc_lo
	s_delay_alu instid0(VALU_DEP_2) | instskip(SKIP_1) | instid1(VALU_DEP_3)
	v_mul_lo_u32 v17, v10, v15
	v_mad_u64_u32 v[11:12], null, v13, v15, 0
	v_mul_lo_u32 v15, v13, v16
	s_delay_alu instid0(VALU_DEP_2) | instskip(NEXT) | instid1(VALU_DEP_2)
	v_sub_co_u32 v9, vcc_lo, v9, v11
	v_add3_u32 v12, v12, v15, v17
	s_delay_alu instid0(VALU_DEP_1) | instskip(NEXT) | instid1(VALU_DEP_1)
	v_sub_nc_u32_e32 v15, v14, v12
	v_sub_co_ci_u32_e64 v11, s0, v15, v10, vcc_lo
	v_sub_co_ci_u32_e32 v12, vcc_lo, v14, v12, vcc_lo
	v_sub_co_u32 v14, vcc_lo, v9, v13
	s_delay_alu instid0(VALU_DEP_1) | instskip(SKIP_3) | instid1(VALU_DEP_3)
	v_subrev_co_ci_u32_e64 v15, s0, 0, v11, vcc_lo
	v_cmp_ge_u32_e64 s0, v9, v13
	v_sub_co_ci_u32_e32 v11, vcc_lo, v11, v10, vcc_lo
	v_cmp_ge_u32_e32 vcc_lo, v12, v10
	v_cndmask_b32_e64 v16, 0, -1, s0
	v_cmp_ge_u32_e64 s0, v14, v13
	v_cndmask_b32_e64 v19, 0, -1, vcc_lo
	v_cmp_eq_u32_e32 vcc_lo, v15, v10
	s_delay_alu instid0(VALU_DEP_3) | instskip(SKIP_1) | instid1(VALU_DEP_1)
	v_cndmask_b32_e64 v17, 0, -1, s0
	v_cmp_ge_u32_e64 s0, v15, v10
	v_cndmask_b32_e64 v18, 0, -1, s0
	v_cmp_eq_u32_e64 s0, v12, v10
	s_delay_alu instid0(VALU_DEP_2) | instskip(SKIP_2) | instid1(VALU_DEP_3)
	v_cndmask_b32_e32 v17, v18, v17, vcc_lo
	v_sub_co_u32 v18, vcc_lo, v14, v13
	v_subrev_co_ci_u32_e32 v11, vcc_lo, 0, v11, vcc_lo
	v_cmp_ne_u32_e32 vcc_lo, 0, v17
	v_cndmask_b32_e64 v10, v19, v16, s0
	s_delay_alu instid0(VALU_DEP_3) | instskip(NEXT) | instid1(VALU_DEP_2)
	v_dual_cndmask_b32 v11, v15, v11 :: v_dual_cndmask_b32 v14, v14, v18
	v_cmp_ne_u32_e32 vcc_lo, 0, v10
	s_delay_alu instid0(VALU_DEP_2)
	v_dual_cndmask_b32 v12, v12, v11 :: v_dual_cndmask_b32 v11, v9, v14
                                        ; implicit-def: $vgpr9_vgpr10
.LBB8_9:
	s_and_not1_saveexec_b32 s0, s1
	s_cbranch_execz .LBB8_11
; %bb.10:
	v_cvt_f32_u32_e32 v10, v13
	v_sub_nc_u32_e32 v11, 0, v13
	v_mov_b32_e32 v12, 0
	s_delay_alu instid0(VALU_DEP_3) | instskip(SKIP_2) | instid1(VALU_DEP_1)
	v_rcp_iflag_f32_e32 v10, v10
	s_waitcnt_depctr 0xfff
	v_mul_f32_e32 v10, 0x4f7ffffe, v10
	v_cvt_u32_f32_e32 v10, v10
	s_delay_alu instid0(VALU_DEP_1) | instskip(NEXT) | instid1(VALU_DEP_1)
	v_mul_lo_u32 v11, v11, v10
	v_mul_hi_u32 v11, v10, v11
	s_delay_alu instid0(VALU_DEP_1) | instskip(NEXT) | instid1(VALU_DEP_1)
	v_add_nc_u32_e32 v10, v10, v11
	v_mul_hi_u32 v10, v9, v10
	s_delay_alu instid0(VALU_DEP_1) | instskip(NEXT) | instid1(VALU_DEP_1)
	v_mul_lo_u32 v10, v10, v13
	v_sub_nc_u32_e32 v9, v9, v10
	s_delay_alu instid0(VALU_DEP_1) | instskip(SKIP_1) | instid1(VALU_DEP_2)
	v_sub_nc_u32_e32 v10, v9, v13
	v_cmp_ge_u32_e32 vcc_lo, v9, v13
	v_cndmask_b32_e32 v9, v9, v10, vcc_lo
	s_delay_alu instid0(VALU_DEP_1) | instskip(SKIP_1) | instid1(VALU_DEP_2)
	v_sub_nc_u32_e32 v10, v9, v13
	v_cmp_ge_u32_e32 vcc_lo, v9, v13
	v_cndmask_b32_e32 v11, v9, v10, vcc_lo
.LBB8_11:
	s_or_b32 exec_lo, exec_lo, s0
	v_sub_nc_u32_e32 v14, v6, v73
	s_mov_b32 s0, 0
	s_getpc_b64 s[2:3]
	s_add_u32 s2, s2, P@rel32@lo+4
	s_addc_u32 s3, s3, P@rel32@hi+12
	v_add_nc_u32_e32 v9, v13, v14
	v_dual_mov_b32 v6, 0 :: v_dual_add_nc_u32 v13, 1, v6
	s_delay_alu instid0(VALU_DEP_2) | instskip(NEXT) | instid1(VALU_DEP_1)
	v_ashrrev_i32_e32 v10, 31, v9
	v_lshlrev_b64 v[9:10], 3, v[9:10]
	s_delay_alu instid0(VALU_DEP_1) | instskip(NEXT) | instid1(VALU_DEP_2)
	v_add_co_u32 v15, vcc_lo, v56, v9
	v_add_co_ci_u32_e32 v16, vcc_lo, v47, v10, vcc_lo
	v_mov_b32_e32 v10, -1
	flat_store_b32 v[15:16], v13
	.p2align	6
.LBB8_12:                               ; =>This Inner Loop Header: Depth=1
	global_load_b64 v[15:16], v6, s[2:3]
	v_lshlrev_b64 v[11:12], 3, v[11:12]
	s_delay_alu instid0(VALU_DEP_1) | instskip(NEXT) | instid1(VALU_DEP_2)
	v_add_co_u32 v11, vcc_lo, v56, v11
	v_add_co_ci_u32_e32 v12, vcc_lo, v47, v12, vcc_lo
	s_waitcnt vmcnt(0)
	global_load_b32 v9, v[15:16], off
	s_waitcnt vmcnt(0)
	v_add_nc_u32_e32 v9, v9, v14
	flat_atomic_cmpswap_b32 v11, v[11:12], v[9:10] offset:4 glc
	s_waitcnt vmcnt(0) lgkmcnt(0)
	v_cmp_eq_u32_e32 vcc_lo, -1, v11
	v_ashrrev_i32_e32 v12, 31, v11
	s_or_b32 s0, vcc_lo, s0
	s_delay_alu instid0(SALU_CYCLE_1)
	s_and_not1_b32 exec_lo, exec_lo, s0
	s_cbranch_execnz .LBB8_12
; %bb.13:
	s_or_b32 exec_lo, exec_lo, s0
	flat_load_b32 v10, v[0:1] offset:4
	flat_load_b32 v6, v[2:3] offset:4
	;; [unrolled: 1-line block ×4, first 2 shown]
	s_mov_b32 s0, exec_lo
	s_waitcnt vmcnt(2) lgkmcnt(2)
	v_mov_b32_e32 v14, v6
	s_waitcnt vmcnt(1) lgkmcnt(1)
	v_mov_b32_e32 v12, v7
	v_cmpx_gt_i32_e64 v10, v6
	s_cbranch_execz .LBB8_15
; %bb.14:
	s_waitcnt vmcnt(0) lgkmcnt(0)
	v_mov_b32_e32 v12, v11
	v_dual_mov_b32 v11, v7 :: v_dual_mov_b32 v14, v10
	v_mov_b32_e32 v10, v6
.LBB8_15:
	s_or_b32 exec_lo, exec_lo, s0
	v_mov_b32_e32 v6, 0
	s_getpc_b64 s[0:1]
	s_add_u32 s0, s0, P@rel32@lo+4
	s_addc_u32 s1, s1, P@rel32@hi+12
	v_mul_lo_u32 v7, 0x1f01, v10
	v_mul_lo_u32 v9, 0xb9b, v14
	global_load_b64 v[4:5], v6, s[0:1]
	s_waitcnt vmcnt(0)
	global_load_b32 v8, v[4:5], off
	s_waitcnt lgkmcnt(0)
	v_mul_lo_u32 v4, 0x38f, v11
	v_mul_lo_u32 v5, 0x161, v12
	s_delay_alu instid0(VALU_DEP_1) | instskip(NEXT) | instid1(VALU_DEP_1)
	v_xor_b32_e32 v4, v4, v5
	v_xor3_b32 v4, v4, v9, v7
	s_delay_alu instid0(VALU_DEP_1) | instskip(SKIP_2) | instid1(VALU_DEP_1)
	v_ashrrev_i32_e32 v9, 31, v4
	s_waitcnt vmcnt(0)
	v_ashrrev_i32_e32 v5, 31, v8
	v_or_b32_e32 v7, v9, v5
	s_delay_alu instid0(VALU_DEP_1) | instskip(SKIP_1) | instid1(SALU_CYCLE_1)
	v_cmp_ne_u64_e32 vcc_lo, 0, v[6:7]
                                        ; implicit-def: $vgpr6_vgpr7
	s_and_saveexec_b32 s0, vcc_lo
	s_xor_b32 s1, exec_lo, s0
	s_cbranch_execz .LBB8_17
; %bb.16:
	v_cvt_f32_u32_e32 v6, v8
	v_cvt_f32_u32_e32 v7, v5
	v_sub_co_u32 v15, vcc_lo, 0, v8
	v_sub_co_ci_u32_e32 v16, vcc_lo, 0, v5, vcc_lo
	s_delay_alu instid0(VALU_DEP_3) | instskip(NEXT) | instid1(VALU_DEP_1)
	v_fmamk_f32 v6, v7, 0x4f800000, v6
	v_rcp_f32_e32 v6, v6
	s_waitcnt_depctr 0xfff
	v_mul_f32_e32 v6, 0x5f7ffffc, v6
	s_delay_alu instid0(VALU_DEP_1) | instskip(NEXT) | instid1(VALU_DEP_1)
	v_mul_f32_e32 v7, 0x2f800000, v6
	v_trunc_f32_e32 v7, v7
	s_delay_alu instid0(VALU_DEP_1) | instskip(SKIP_1) | instid1(VALU_DEP_2)
	v_fmamk_f32 v6, v7, 0xcf800000, v6
	v_cvt_u32_f32_e32 v7, v7
	v_cvt_u32_f32_e32 v6, v6
	s_delay_alu instid0(VALU_DEP_2) | instskip(NEXT) | instid1(VALU_DEP_2)
	v_mul_lo_u32 v17, v15, v7
	v_mul_hi_u32 v18, v15, v6
	v_mul_lo_u32 v19, v16, v6
	s_delay_alu instid0(VALU_DEP_2) | instskip(SKIP_1) | instid1(VALU_DEP_2)
	v_add_nc_u32_e32 v17, v18, v17
	v_mul_lo_u32 v18, v15, v6
	v_add_nc_u32_e32 v17, v17, v19
	s_delay_alu instid0(VALU_DEP_2) | instskip(NEXT) | instid1(VALU_DEP_2)
	v_mul_hi_u32 v19, v6, v18
	v_mul_lo_u32 v20, v6, v17
	v_mul_hi_u32 v21, v6, v17
	v_mul_hi_u32 v22, v7, v18
	v_mul_lo_u32 v18, v7, v18
	v_mul_hi_u32 v23, v7, v17
	v_mul_lo_u32 v17, v7, v17
	v_add_co_u32 v19, vcc_lo, v19, v20
	v_add_co_ci_u32_e32 v20, vcc_lo, 0, v21, vcc_lo
	s_delay_alu instid0(VALU_DEP_2) | instskip(NEXT) | instid1(VALU_DEP_2)
	v_add_co_u32 v18, vcc_lo, v19, v18
	v_add_co_ci_u32_e32 v18, vcc_lo, v20, v22, vcc_lo
	v_add_co_ci_u32_e32 v19, vcc_lo, 0, v23, vcc_lo
	s_delay_alu instid0(VALU_DEP_2) | instskip(NEXT) | instid1(VALU_DEP_2)
	v_add_co_u32 v17, vcc_lo, v18, v17
	v_add_co_ci_u32_e32 v18, vcc_lo, 0, v19, vcc_lo
	s_delay_alu instid0(VALU_DEP_2) | instskip(NEXT) | instid1(VALU_DEP_2)
	v_add_co_u32 v6, vcc_lo, v6, v17
	v_add_co_ci_u32_e32 v7, vcc_lo, v7, v18, vcc_lo
	s_delay_alu instid0(VALU_DEP_2) | instskip(SKIP_1) | instid1(VALU_DEP_3)
	v_mul_hi_u32 v17, v15, v6
	v_mul_lo_u32 v16, v16, v6
	v_mul_lo_u32 v18, v15, v7
	;; [unrolled: 1-line block ×3, first 2 shown]
	s_delay_alu instid0(VALU_DEP_2) | instskip(NEXT) | instid1(VALU_DEP_2)
	v_add_nc_u32_e32 v17, v17, v18
	v_mul_hi_u32 v20, v7, v15
	s_delay_alu instid0(VALU_DEP_2) | instskip(SKIP_2) | instid1(VALU_DEP_3)
	v_add_nc_u32_e32 v16, v17, v16
	v_mul_hi_u32 v17, v6, v15
	v_mul_lo_u32 v15, v7, v15
	v_mul_lo_u32 v18, v6, v16
	v_mul_hi_u32 v19, v6, v16
	v_mul_hi_u32 v21, v7, v16
	v_mul_lo_u32 v16, v7, v16
	s_delay_alu instid0(VALU_DEP_4) | instskip(NEXT) | instid1(VALU_DEP_4)
	v_add_co_u32 v17, vcc_lo, v17, v18
	v_add_co_ci_u32_e32 v18, vcc_lo, 0, v19, vcc_lo
	s_delay_alu instid0(VALU_DEP_2) | instskip(NEXT) | instid1(VALU_DEP_2)
	v_add_co_u32 v15, vcc_lo, v17, v15
	v_add_co_ci_u32_e32 v15, vcc_lo, v18, v20, vcc_lo
	v_add_co_ci_u32_e32 v17, vcc_lo, 0, v21, vcc_lo
	s_delay_alu instid0(VALU_DEP_2) | instskip(NEXT) | instid1(VALU_DEP_2)
	v_add_co_u32 v15, vcc_lo, v15, v16
	v_add_co_ci_u32_e32 v16, vcc_lo, 0, v17, vcc_lo
	s_delay_alu instid0(VALU_DEP_2) | instskip(NEXT) | instid1(VALU_DEP_2)
	v_add_co_u32 v17, vcc_lo, v6, v15
	v_add_co_ci_u32_e32 v19, vcc_lo, v7, v16, vcc_lo
	s_delay_alu instid0(VALU_DEP_2) | instskip(SKIP_1) | instid1(VALU_DEP_3)
	v_mul_hi_u32 v20, v4, v17
	v_mad_u64_u32 v[15:16], null, v9, v17, 0
	v_mad_u64_u32 v[6:7], null, v4, v19, 0
	;; [unrolled: 1-line block ×3, first 2 shown]
	s_delay_alu instid0(VALU_DEP_2) | instskip(NEXT) | instid1(VALU_DEP_3)
	v_add_co_u32 v6, vcc_lo, v20, v6
	v_add_co_ci_u32_e32 v7, vcc_lo, 0, v7, vcc_lo
	s_delay_alu instid0(VALU_DEP_2) | instskip(NEXT) | instid1(VALU_DEP_2)
	v_add_co_u32 v6, vcc_lo, v6, v15
	v_add_co_ci_u32_e32 v6, vcc_lo, v7, v16, vcc_lo
	v_add_co_ci_u32_e32 v7, vcc_lo, 0, v18, vcc_lo
	s_delay_alu instid0(VALU_DEP_2) | instskip(NEXT) | instid1(VALU_DEP_2)
	v_add_co_u32 v15, vcc_lo, v6, v17
	v_add_co_ci_u32_e32 v16, vcc_lo, 0, v7, vcc_lo
	s_delay_alu instid0(VALU_DEP_2) | instskip(SKIP_1) | instid1(VALU_DEP_3)
	v_mul_lo_u32 v17, v5, v15
	v_mad_u64_u32 v[6:7], null, v8, v15, 0
	v_mul_lo_u32 v15, v8, v16
	s_delay_alu instid0(VALU_DEP_2) | instskip(NEXT) | instid1(VALU_DEP_2)
	v_sub_co_u32 v4, vcc_lo, v4, v6
	v_add3_u32 v7, v7, v15, v17
	s_delay_alu instid0(VALU_DEP_1) | instskip(NEXT) | instid1(VALU_DEP_1)
	v_sub_nc_u32_e32 v15, v9, v7
	v_sub_co_ci_u32_e64 v6, s0, v15, v5, vcc_lo
	v_sub_co_ci_u32_e32 v7, vcc_lo, v9, v7, vcc_lo
	v_sub_co_u32 v9, vcc_lo, v4, v8
	s_delay_alu instid0(VALU_DEP_1) | instskip(SKIP_3) | instid1(VALU_DEP_3)
	v_subrev_co_ci_u32_e64 v15, s0, 0, v6, vcc_lo
	v_cmp_ge_u32_e64 s0, v4, v8
	v_sub_co_ci_u32_e32 v6, vcc_lo, v6, v5, vcc_lo
	v_cmp_ge_u32_e32 vcc_lo, v7, v5
	v_cndmask_b32_e64 v16, 0, -1, s0
	v_cmp_ge_u32_e64 s0, v9, v8
	v_cndmask_b32_e64 v19, 0, -1, vcc_lo
	v_cmp_eq_u32_e32 vcc_lo, v15, v5
	s_delay_alu instid0(VALU_DEP_3) | instskip(SKIP_1) | instid1(VALU_DEP_1)
	v_cndmask_b32_e64 v17, 0, -1, s0
	v_cmp_ge_u32_e64 s0, v15, v5
	v_cndmask_b32_e64 v18, 0, -1, s0
	v_cmp_eq_u32_e64 s0, v7, v5
	s_delay_alu instid0(VALU_DEP_2) | instskip(SKIP_2) | instid1(VALU_DEP_3)
	v_cndmask_b32_e32 v17, v18, v17, vcc_lo
	v_sub_co_u32 v8, vcc_lo, v9, v8
	v_subrev_co_ci_u32_e32 v6, vcc_lo, 0, v6, vcc_lo
	v_cmp_ne_u32_e32 vcc_lo, 0, v17
	v_cndmask_b32_e64 v5, v19, v16, s0
	s_delay_alu instid0(VALU_DEP_3) | instskip(SKIP_1) | instid1(VALU_DEP_3)
	v_cndmask_b32_e32 v6, v15, v6, vcc_lo
	v_cndmask_b32_e32 v8, v9, v8, vcc_lo
	v_cmp_ne_u32_e32 vcc_lo, 0, v5
	s_delay_alu instid0(VALU_DEP_2)
	v_dual_cndmask_b32 v7, v7, v6 :: v_dual_cndmask_b32 v6, v4, v8
                                        ; implicit-def: $vgpr8
                                        ; implicit-def: $vgpr4_vgpr5
.LBB8_17:
	s_and_not1_saveexec_b32 s0, s1
	s_cbranch_execz .LBB8_19
; %bb.18:
	v_cvt_f32_u32_e32 v5, v8
	v_sub_nc_u32_e32 v6, 0, v8
	v_mov_b32_e32 v7, 0
	s_delay_alu instid0(VALU_DEP_3) | instskip(SKIP_2) | instid1(VALU_DEP_1)
	v_rcp_iflag_f32_e32 v5, v5
	s_waitcnt_depctr 0xfff
	v_mul_f32_e32 v5, 0x4f7ffffe, v5
	v_cvt_u32_f32_e32 v5, v5
	s_delay_alu instid0(VALU_DEP_1) | instskip(NEXT) | instid1(VALU_DEP_1)
	v_mul_lo_u32 v6, v6, v5
	v_mul_hi_u32 v6, v5, v6
	s_delay_alu instid0(VALU_DEP_1) | instskip(NEXT) | instid1(VALU_DEP_1)
	v_add_nc_u32_e32 v5, v5, v6
	v_mul_hi_u32 v5, v4, v5
	s_delay_alu instid0(VALU_DEP_1) | instskip(NEXT) | instid1(VALU_DEP_1)
	v_mul_lo_u32 v5, v5, v8
	v_sub_nc_u32_e32 v4, v4, v5
	s_delay_alu instid0(VALU_DEP_1) | instskip(SKIP_1) | instid1(VALU_DEP_2)
	v_sub_nc_u32_e32 v5, v4, v8
	v_cmp_ge_u32_e32 vcc_lo, v4, v8
	v_cndmask_b32_e32 v4, v4, v5, vcc_lo
	s_delay_alu instid0(VALU_DEP_1) | instskip(SKIP_1) | instid1(VALU_DEP_2)
	v_sub_nc_u32_e32 v5, v4, v8
	v_cmp_ge_u32_e32 vcc_lo, v4, v8
	v_cndmask_b32_e32 v6, v4, v5, vcc_lo
.LBB8_19:
	s_or_b32 exec_lo, exec_lo, s0
	s_delay_alu instid0(VALU_DEP_1) | instskip(SKIP_2) | instid1(VALU_DEP_2)
	v_lshlrev_b64 v[4:5], 3, v[6:7]
	v_mov_b32_e32 v8, -1
	s_mov_b32 s0, exec_lo
	v_add_co_u32 v4, vcc_lo, v56, v4
	s_delay_alu instid0(VALU_DEP_3)
	v_add_co_ci_u32_e32 v5, vcc_lo, v47, v5, vcc_lo
	flat_load_b32 v5, v[4:5] offset:4
	s_waitcnt vmcnt(0) lgkmcnt(0)
	v_cmpx_ne_u32_e32 -1, v5
	s_cbranch_execz .LBB8_33
; %bb.20:
	s_mov_b32 s1, 0
                                        ; implicit-def: $vgpr15
	s_branch .LBB8_22
.LBB8_21:                               ;   in Loop: Header=BB8_22 Depth=1
	s_or_b32 exec_lo, exec_lo, s3
	v_mov_b32_e32 v15, v4
	s_and_b32 s2, exec_lo, s2
	s_delay_alu instid0(SALU_CYCLE_1) | instskip(NEXT) | instid1(SALU_CYCLE_1)
	s_or_b32 s1, s2, s1
	s_and_not1_b32 exec_lo, exec_lo, s1
	s_cbranch_execz .LBB8_32
.LBB8_22:                               ; =>This Inner Loop Header: Depth=1
	v_ashrrev_i32_e32 v6, 31, v5
	s_mov_b32 s3, exec_lo
                                        ; implicit-def: $sgpr4
	s_delay_alu instid0(VALU_DEP_1) | instskip(NEXT) | instid1(VALU_DEP_1)
	v_lshlrev_b64 v[4:5], 3, v[5:6]
	v_add_co_u32 v6, vcc_lo, v56, v4
	s_delay_alu instid0(VALU_DEP_2) | instskip(SKIP_3) | instid1(VALU_DEP_1)
	v_add_co_ci_u32_e32 v7, vcc_lo, v47, v5, vcc_lo
	flat_load_b32 v4, v[6:7]
	s_waitcnt vmcnt(0) lgkmcnt(0)
	v_ashrrev_i32_e32 v5, 31, v4
	v_lshlrev_b64 v[8:9], 2, v[4:5]
	s_delay_alu instid0(VALU_DEP_1) | instskip(NEXT) | instid1(VALU_DEP_2)
	v_add_co_u32 v16, vcc_lo, v72, v8
	v_add_co_ci_u32_e32 v17, vcc_lo, v63, v9, vcc_lo
	flat_load_b32 v5, v[16:17]
	s_waitcnt vmcnt(0) lgkmcnt(0)
	v_cmp_ne_u32_e64 s2, v5, v10
	v_cmpx_eq_u32_e64 v5, v10
	s_cbranch_execz .LBB8_28
; %bb.23:                               ;   in Loop: Header=BB8_22 Depth=1
	v_add_co_u32 v16, vcc_lo, v62, v8
	v_add_co_ci_u32_e32 v17, vcc_lo, v61, v9, vcc_lo
	s_mov_b32 s6, exec_lo
                                        ; implicit-def: $sgpr4
	flat_load_b32 v5, v[16:17]
	s_waitcnt vmcnt(0) lgkmcnt(0)
	v_cmp_ne_u32_e64 s5, v5, v14
	v_cmpx_eq_u32_e64 v5, v14
	s_cbranch_execz .LBB8_27
; %bb.24:                               ;   in Loop: Header=BB8_22 Depth=1
	v_add_co_u32 v16, vcc_lo, v60, v8
	v_add_co_ci_u32_e32 v17, vcc_lo, v59, v9, vcc_lo
	s_mov_b32 s8, exec_lo
                                        ; implicit-def: $sgpr4
	flat_load_b32 v5, v[16:17]
	s_waitcnt vmcnt(0) lgkmcnt(0)
	v_cmp_ne_u32_e64 s7, v5, v11
	v_cmpx_eq_u32_e64 v5, v11
	s_cbranch_execz .LBB8_26
; %bb.25:                               ;   in Loop: Header=BB8_22 Depth=1
	v_add_co_u32 v8, vcc_lo, v58, v8
	v_add_co_ci_u32_e32 v9, vcc_lo, v57, v9, vcc_lo
	s_and_not1_b32 s7, s7, exec_lo
	s_mov_b32 s4, 0
	flat_load_b32 v5, v[8:9]
	s_waitcnt vmcnt(0) lgkmcnt(0)
	v_cmp_ne_u32_e32 vcc_lo, v5, v12
	s_and_b32 s9, vcc_lo, exec_lo
	s_delay_alu instid0(SALU_CYCLE_1)
	s_or_b32 s7, s7, s9
.LBB8_26:                               ;   in Loop: Header=BB8_22 Depth=1
	s_or_b32 exec_lo, exec_lo, s8
	s_delay_alu instid0(SALU_CYCLE_1) | instskip(SKIP_1) | instid1(SALU_CYCLE_1)
	s_and_not1_b32 s5, s5, exec_lo
	s_and_b32 s7, s7, exec_lo
	s_or_b32 s5, s5, s7
.LBB8_27:                               ;   in Loop: Header=BB8_22 Depth=1
	s_or_b32 exec_lo, exec_lo, s6
	s_delay_alu instid0(SALU_CYCLE_1) | instskip(SKIP_1) | instid1(SALU_CYCLE_1)
	s_and_not1_b32 s2, s2, exec_lo
	s_and_b32 s5, s5, exec_lo
	s_or_b32 s2, s2, s5
.LBB8_28:                               ;   in Loop: Header=BB8_22 Depth=1
	s_or_b32 exec_lo, exec_lo, s3
	s_delay_alu instid0(VALU_DEP_2)
	s_and_saveexec_b32 s3, s2
; %bb.29:                               ;   in Loop: Header=BB8_22 Depth=1
	v_mov_b32_e32 v4, v15
	s_or_b32 s4, s4, exec_lo
; %bb.30:                               ;   in Loop: Header=BB8_22 Depth=1
	s_or_b32 exec_lo, exec_lo, s3
	s_delay_alu instid0(VALU_DEP_1)
	v_mov_b32_e32 v8, v4
	s_mov_b32 s2, -1
                                        ; implicit-def: $vgpr5
	s_and_saveexec_b32 s3, s4
	s_cbranch_execz .LBB8_21
; %bb.31:                               ;   in Loop: Header=BB8_22 Depth=1
	flat_load_b32 v5, v[6:7] offset:4
	v_mov_b32_e32 v8, -1
	s_waitcnt vmcnt(0) lgkmcnt(0)
	v_cmp_eq_u32_e32 vcc_lo, -1, v5
	s_or_not1_b32 s2, vcc_lo, exec_lo
	s_branch .LBB8_21
.LBB8_32:
	s_or_b32 exec_lo, exec_lo, s1
.LBB8_33:
	s_delay_alu instid0(SALU_CYCLE_1) | instskip(NEXT) | instid1(SALU_CYCLE_1)
	s_or_b32 exec_lo, exec_lo, s0
	s_mov_b32 s0, exec_lo
	v_cmpx_ne_u32_e64 v8, v13
	s_cbranch_execz .LBB8_35
; %bb.34:
	v_dual_mov_b32 v4, -1 :: v_dual_mov_b32 v13, v8
	flat_store_b32 v[2:3], v4 offset:4
	flat_store_b32 v[0:1], v4 offset:4
.LBB8_35:
	s_or_b32 exec_lo, exec_lo, s0
	flat_store_b32 v[78:79], v13
.LBB8_36:
	s_or_b32 exec_lo, exec_lo, s34
	s_clause 0x19
	scratch_load_b32 v89, off, s33
	scratch_load_b32 v88, off, s33 offset:4
	scratch_load_b32 v79, off, s33 offset:8
	;; [unrolled: 1-line block ×25, first 2 shown]
	v_readlane_b32 s30, v90, 3
	v_readlane_b32 s31, v90, 4
	;; [unrolled: 1-line block ×6, first 2 shown]
	s_or_saveexec_b32 s1, -1
	scratch_load_b32 v90, off, s33 offset:104 ; 4-byte Folded Reload
	s_mov_b32 exec_lo, s1
	s_addk_i32 s32, 0xff90
	s_mov_b32 s33, s0
	s_waitcnt vmcnt(0) lgkmcnt(0)
	s_setpc_b64 s[30:31]
.Lfunc_end8:
	.size	_Z10BuildSubgriiPN2rw7LibraryEPimS2_S2_S2_S2_S2_PNS_9TableNodeEi, .Lfunc_end8-_Z10BuildSubgriiPN2rw7LibraryEPimS2_S2_S2_S2_S2_PNS_9TableNodeEi
                                        ; -- End function
	.section	.AMDGPU.csdata,"",@progbits
; Function info:
; codeLenInByte = 4552
; NumSgprs: 40
; NumVgprs: 91
; ScratchSize: 112
; MemoryBound: 0
	.text
	.protected	_Z12ReplaceSubgriPiS_S_S_S_PN2rw3CutEPNS0_7LibraryEPNS0_9TableNodeES6_S_S_ ; -- Begin function _Z12ReplaceSubgriPiS_S_S_S_PN2rw3CutEPNS0_7LibraryEPNS0_9TableNodeES6_S_S_
	.globl	_Z12ReplaceSubgriPiS_S_S_S_PN2rw3CutEPNS0_7LibraryEPNS0_9TableNodeES6_S_S_
	.p2align	8
	.type	_Z12ReplaceSubgriPiS_S_S_S_PN2rw3CutEPNS0_7LibraryEPNS0_9TableNodeES6_S_S_,@function
_Z12ReplaceSubgriPiS_S_S_S_PN2rw3CutEPNS0_7LibraryEPNS0_9TableNodeES6_S_S_: ; @_Z12ReplaceSubgriPiS_S_S_S_PN2rw3CutEPNS0_7LibraryEPNS0_9TableNodeES6_S_S_
; %bb.0:
	s_clause 0x1
	s_load_b32 s4, s[2:3], 0x6c
	s_load_b32 s20, s[2:3], 0x0
	v_and_b32_e32 v1, 0x3ff, v0
	s_movk_i32 s32, 0xe0
	s_waitcnt lgkmcnt(0)
	s_and_b32 s4, s4, 0xffff
	s_delay_alu instid0(VALU_DEP_1) | instid1(SALU_CYCLE_1)
	v_mad_u64_u32 v[3:4], null, s15, s4, v[1:2]
	s_mov_b32 s4, exec_lo
	s_delay_alu instid0(VALU_DEP_1)
	v_cmpx_gt_u32_e64 s20, v3
	s_cbranch_execz .LBB9_41
; %bb.1:
	s_load_b512 s[4:19], s[2:3], 0x8
	s_load_b64 s[0:1], s[0:1], 0x4
	v_bfe_u32 v2, v0, 10, 10
	v_bfe_u32 v0, v0, 20, 10
	s_waitcnt lgkmcnt(0)
	v_mad_i64_i32 v[8:9], null, v3, 28, s[14:15]
	s_lshr_b32 s0, s0, 16
	v_mul_u32_u24_e32 v2, s1, v2
	s_mul_i32 s0, s0, s1
	s_clause 0x1
	global_load_b128 v[4:7], v[8:9], off offset:40
	global_load_b128 v[8:11], v[8:9], off offset:28
	v_mul_lo_u32 v1, s0, v1
	s_delay_alu instid0(VALU_DEP_1) | instskip(NEXT) | instid1(VALU_DEP_1)
	v_add3_u32 v0, v1, v2, v0
	v_mul_lo_u32 v2, v0, 28
	s_waitcnt vmcnt(1)
	ds_store_2addr_b32 v2, v4, v5 offset0:3 offset1:4
	ds_store_2addr_b32 v2, v6, v7 offset0:5 offset1:6
	ds_load_u8 v0, v2 offset:24
	s_waitcnt vmcnt(0)
	ds_store_2addr_b32 v2, v10, v11 offset0:2 offset1:3
	ds_store_2addr_b32 v2, v8, v9 offset1:1
	s_waitcnt lgkmcnt(2)
	v_cmp_ne_u16_e32 vcc_lo, 0, v0
	s_and_b32 exec_lo, exec_lo, vcc_lo
	s_cbranch_execz .LBB9_41
; %bb.2:
	ds_load_b32 v0, v2 offset:20
	s_waitcnt lgkmcnt(0)
	v_bfe_u32 v1, v0, 27, 4
	s_delay_alu instid0(VALU_DEP_1)
	v_cmp_lt_u32_e32 vcc_lo, 2, v1
	s_and_b32 exec_lo, exec_lo, vcc_lo
	s_cbranch_execz .LBB9_41
; %bb.3:
	v_ashrrev_i32_e32 v4, 31, v3
	s_mov_b32 s0, exec_lo
	v_cmpx_eq_u32_e32 3, v1
	s_cbranch_execz .LBB9_5
; %bb.4:
	s_mov_b32 s1, 0x87ffffff
	v_mov_b32_e32 v1, 0
	v_and_or_b32 v0, v0, s1, 0x20000000
	ds_store_2addr_b32 v2, v1, v0 offset0:4 offset1:5
.LBB9_5:
	s_or_b32 exec_lo, exec_lo, s0
	s_mov_b32 s24, -1
	v_lshlrev_b64 v[40:41], 2, v[3:4]
	s_mov_b32 s25, s24
	s_mov_b32 s26, s24
	s_mov_b32 s27, s24
	v_and_b32_e32 v0, 0xffff, v0
	s_mov_b32 s14, exec_lo
	s_delay_alu instid0(VALU_DEP_1) | instskip(NEXT) | instid1(VALU_DEP_1)
	v_lshlrev_b32_e32 v12, 2, v0
	v_add_co_u32 v6, s0, s16, v12
	s_delay_alu instid0(VALU_DEP_1) | instskip(SKIP_1) | instid1(VALU_DEP_2)
	v_add_co_ci_u32_e64 v7, null, s17, 0, s0
	s_add_u32 s0, s16, 0xc0870
	v_add_co_u32 v0, vcc_lo, 0x40000, v6
	s_delay_alu instid0(VALU_DEP_2)
	v_add_co_ci_u32_e32 v1, vcc_lo, 0, v7, vcc_lo
	s_addc_u32 s1, s17, 0
	global_load_b32 v5, v[0:1], off
	v_add_co_u32 v0, vcc_lo, s4, v40
	v_add_co_ci_u32_e32 v1, vcc_lo, s5, v41, vcc_lo
	v_add_co_u32 v6, vcc_lo, 0x80000, v6
	v_add_co_ci_u32_e32 v7, vcc_lo, 0, v7, vcc_lo
	global_load_b32 v8, v[0:1], off offset:4
	global_load_b32 v1, v[6:7], off offset:384
	s_waitcnt vmcnt(2)
	v_ashrrev_i32_e32 v6, 31, v5
	s_delay_alu instid0(VALU_DEP_1) | instskip(SKIP_2) | instid1(VALU_DEP_2)
	v_lshlrev_b64 v[4:5], 4, v[5:6]
	s_waitcnt vmcnt(1)
	v_ashrrev_i32_e32 v9, 31, v8
	v_add_co_u32 v0, vcc_lo, s16, v4
	s_delay_alu instid0(VALU_DEP_3) | instskip(SKIP_2) | instid1(VALU_DEP_3)
	v_add_co_ci_u32_e32 v5, vcc_lo, s17, v5, vcc_lo
	s_waitcnt vmcnt(0)
	v_mad_i64_i32 v[10:11], null, 0x50, v1, s[0:1]
	v_add_co_u32 v4, vcc_lo, 0x80000, v0
	s_delay_alu instid0(VALU_DEP_3)
	v_add_co_ci_u32_e32 v5, vcc_lo, 0, v5, vcc_lo
	v_lshlrev_b64 v[8:9], 2, v[8:9]
	s_mov_b32 s1, 0
	global_load_b128 v[4:7], v[4:5], off
	v_add_co_u32 v8, vcc_lo, v10, v8
	v_add_co_ci_u32_e32 v9, vcc_lo, v11, v9, vcc_lo
	s_clause 0x1
	global_load_b32 v0, v[8:9], off
	global_load_b32 v9, v12, s[16:17]
	s_waitcnt vmcnt(2)
	v_lshl_add_u32 v4, v4, 2, v2
	v_lshl_add_u32 v5, v5, 2, v2
	;; [unrolled: 1-line block ×4, first 2 shown]
	ds_load_b32 v14, v4 offset:4
	ds_load_b32 v15, v5 offset:4
	ds_load_b32 v16, v6 offset:4
	ds_load_b32 v17, v2 offset:4
	v_mov_b32_e32 v6, -1
	v_dual_mov_b32 v10, s24 :: v_dual_mov_b32 v11, s25
	s_waitcnt vmcnt(1)
	v_lshlrev_b64 v[4:5], v0, 1
	s_delay_alu instid0(VALU_DEP_3)
	v_dual_mov_b32 v12, s26 :: v_dual_mov_b32 v7, v6
	v_mov_b32_e32 v13, s27
	v_ashrrev_i32_e32 v2, 31, v1
	s_clause 0xc
	scratch_store_b128 off, v[10:13], off offset:32
	scratch_store_b128 off, v[10:13], off offset:48
	;; [unrolled: 1-line block ×11, first 2 shown]
	scratch_store_b64 off, v[6:7], off offset:208
	scratch_store_b128 off, v[10:13], off offset:16
	s_waitcnt lgkmcnt(0)
	scratch_store_b128 off, v[14:17], off
	v_cmpx_lt_i32_e32 3, v0
	s_cbranch_execz .LBB9_11
; %bb.6:
	v_dual_mov_b32 v7, 0 :: v_dual_add_nc_u32 v6, -4, v0
	s_mov_b64 s[4:5], 0
	s_delay_alu instid0(VALU_DEP_1) | instskip(NEXT) | instid1(VALU_DEP_1)
	v_lshlrev_b64 v[6:7], 2, v[6:7]
	v_mad_i64_i32 v[10:11], null, 0xf0, v1, v[6:7]
	s_delay_alu instid0(VALU_DEP_1) | instskip(NEXT) | instid1(VALU_DEP_2)
	v_add_co_u32 v6, vcc_lo, v10, s16
	v_add_co_ci_u32_e32 v7, vcc_lo, s17, v11, vcc_lo
	s_delay_alu instid0(VALU_DEP_2) | instskip(NEXT) | instid1(VALU_DEP_2)
	v_add_co_u32 v6, vcc_lo, 0xc4dd0, v6
	v_add_co_ci_u32_e32 v7, vcc_lo, 0, v7, vcc_lo
	s_set_inst_prefetch_distance 0x1
	s_branch .LBB9_8
	.p2align	6
.LBB9_7:                                ;   in Loop: Header=BB9_8 Depth=1
	s_or_b32 exec_lo, exec_lo, s0
	s_add_u32 s4, s4, -1
	v_add_co_u32 v6, s0, v6, -4
	v_add3_u32 v8, v0, s4, 1
	v_add_co_ci_u32_e64 v7, s0, -1, v7, s0
	s_addc_u32 s5, s5, -1
	s_delay_alu instid0(VALU_DEP_2) | instskip(SKIP_1) | instid1(SALU_CYCLE_1)
	v_cmp_gt_u32_e32 vcc_lo, 5, v8
	s_or_b32 s1, vcc_lo, s1
	s_and_not1_b32 exec_lo, exec_lo, s1
	s_cbranch_execz .LBB9_10
.LBB9_8:                                ; =>This Inner Loop Header: Depth=1
	v_add_nc_u32_e32 v8, s4, v0
	s_mov_b32 s0, exec_lo
	s_delay_alu instid0(VALU_DEP_1) | instskip(NEXT) | instid1(VALU_DEP_1)
	v_lshrrev_b64 v[10:11], v8, v[4:5]
	v_and_b32_e32 v8, 1, v10
	s_delay_alu instid0(VALU_DEP_1)
	v_cmpx_eq_u32_e32 1, v8
	s_cbranch_execz .LBB9_7
; %bb.9:                                ;   in Loop: Header=BB9_8 Depth=1
	v_add_co_u32 v10, vcc_lo, 0xd000, v6
	v_add_co_ci_u32_e32 v11, vcc_lo, 0, v7, vcc_lo
	s_clause 0x1
	global_load_b32 v8, v[6:7], off
	global_load_b32 v12, v[10:11], off offset:32
	s_waitcnt vmcnt(1)
	v_lshlrev_b64 v[10:11], v8, 1
	s_waitcnt vmcnt(0)
	v_lshlrev_b64 v[12:13], v12, 1
	s_delay_alu instid0(VALU_DEP_1) | instskip(NEXT) | instid1(VALU_DEP_2)
	v_or3_b32 v5, v11, v13, v5
	v_or3_b32 v4, v10, v12, v4
	s_branch .LBB9_7
.LBB9_10:
	s_set_inst_prefetch_distance 0x2
	s_or_b32 exec_lo, exec_lo, s1
.LBB9_11:
	s_delay_alu instid0(SALU_CYCLE_1)
	s_or_b32 exec_lo, exec_lo, s14
	v_lshlrev_b64 v[6:7], 2, v[1:2]
	v_mov_b32_e32 v8, 0
	v_add_nc_u32_e64 v15, 0, 16
	s_mov_b32 s5, 0
	s_mov_b32 s21, exec_lo
	s_delay_alu instid0(VALU_DEP_3) | instskip(SKIP_1) | instid1(VALU_DEP_2)
	v_add_co_u32 v2, vcc_lo, s16, v6
	v_add_co_ci_u32_e32 v7, vcc_lo, s17, v7, vcc_lo
	v_add_co_u32 v6, vcc_lo, 0xc0000, v2
	s_delay_alu instid0(VALU_DEP_2)
	v_add_co_ci_u32_e32 v7, vcc_lo, 0, v7, vcc_lo
	global_load_b32 v2, v[6:7], off offset:384
	s_waitcnt vmcnt(1)
	v_dual_mov_b32 v7, v8 :: v_dual_and_b32 v6, 15, v9
	s_waitcnt vmcnt(0)
	v_cmpx_lt_i32_e32 0, v2
	s_cbranch_execz .LBB9_39
; %bb.12:
	s_add_u32 s22, s16, 0xc4dd0
	s_addc_u32 s23, s17, 0
	s_add_u32 s24, s16, 0xd1df0
	s_addc_u32 s25, s17, 0
	;; [unrolled: 2-line block ×4, first 2 shown]
	s_getpc_b64 s[0:1]
	s_add_u32 s0, s0, P@rel32@lo+4
	s_addc_u32 s1, s1, P@rel32@hi+12
	s_mov_b32 s30, 0
	s_load_b64 s[14:15], s[0:1], 0x0
	s_mov_b32 s4, s5
	s_branch .LBB9_14
.LBB9_13:                               ;   in Loop: Header=BB9_14 Depth=1
	s_or_b32 exec_lo, exec_lo, s31
	s_add_i32 s4, s4, 1
	s_delay_alu instid0(SALU_CYCLE_1) | instskip(SKIP_1) | instid1(SALU_CYCLE_1)
	v_cmp_eq_u32_e32 vcc_lo, s4, v2
	s_or_b32 s30, vcc_lo, s30
	s_and_not1_b32 exec_lo, exec_lo, s30
	s_cbranch_execz .LBB9_39
.LBB9_14:                               ; =>This Loop Header: Depth=1
                                        ;     Child Loop BB9_26 Depth 2
	s_add_i32 s0, s4, 4
	s_mov_b32 s31, exec_lo
	v_lshrrev_b64 v[9:10], s0, v[4:5]
	s_delay_alu instid0(VALU_DEP_1) | instskip(NEXT) | instid1(VALU_DEP_1)
	v_and_b32_e32 v9, 1, v9
	v_cmpx_eq_u32_e32 1, v9
	s_cbranch_execz .LBB9_13
; %bb.15:                               ;   in Loop: Header=BB9_14 Depth=1
	s_lshl_b64 s[0:1], s[4:5], 2
	s_delay_alu instid0(SALU_CYCLE_1) | instskip(SKIP_1) | instid1(SALU_CYCLE_1)
	s_add_u32 s34, s0, s22
	s_addc_u32 s35, s1, s23
	v_mad_i64_i32 v[9:10], null, 0xf0, v1, s[34:35]
	global_load_b32 v10, v[9:10], off
	s_waitcnt vmcnt(0)
	v_lshl_add_u32 v9, v10, 2, 0
	scratch_load_b32 v16, v9, off
	s_waitcnt vmcnt(0)
	v_cmp_ne_u32_e32 vcc_lo, -1, v16
	s_and_b32 exec_lo, exec_lo, vcc_lo
	s_cbranch_execz .LBB9_13
; %bb.16:                               ;   in Loop: Header=BB9_14 Depth=1
	s_add_u32 s34, s0, s24
	s_addc_u32 s35, s1, s25
	s_delay_alu instid0(SALU_CYCLE_1)
	v_mad_i64_i32 v[11:12], null, 0xf0, v1, s[34:35]
	global_load_b32 v11, v[11:12], off
	s_waitcnt vmcnt(0)
	v_lshl_add_u32 v9, v11, 2, 0
	scratch_load_b32 v9, v9, off
	s_waitcnt vmcnt(0)
	v_cmp_ne_u32_e32 vcc_lo, -1, v9
	s_and_b32 exec_lo, exec_lo, vcc_lo
	s_cbranch_execz .LBB9_13
; %bb.17:                               ;   in Loop: Header=BB9_14 Depth=1
	s_add_u32 s34, s0, s26
	s_addc_u32 s35, s1, s27
	s_add_u32 s0, s0, s28
	s_addc_u32 s1, s1, s29
	v_mad_i64_i32 v[17:18], null, 0xf0, v1, s[34:35]
	v_mad_i64_i32 v[12:13], null, 0xf0, v1, s[0:1]
	s_mov_b32 s0, exec_lo
	s_clause 0x1
	global_load_b32 v14, v[12:13], off
	global_load_b32 v17, v[17:18], off
	v_lshrrev_b64 v[11:12], v11, v[6:7]
	v_lshrrev_b64 v[12:13], v10, v[6:7]
	s_delay_alu instid0(VALU_DEP_2) | instskip(SKIP_1) | instid1(VALU_DEP_1)
	v_dual_mov_b32 v19, v9 :: v_dual_and_b32 v10, 1, v11
	s_waitcnt vmcnt(1)
	v_xor_b32_e32 v10, v14, v10
	s_delay_alu instid0(VALU_DEP_1) | instskip(SKIP_1) | instid1(VALU_DEP_1)
	v_dual_mov_b32 v18, v10 :: v_dual_and_b32 v11, 1, v12
	s_waitcnt vmcnt(0)
	v_xor_b32_e32 v17, v17, v11
	v_cmpx_gt_i32_e64 v16, v9
; %bb.18:                               ;   in Loop: Header=BB9_14 Depth=1
	s_delay_alu instid0(VALU_DEP_2)
	v_dual_mov_b32 v18, v17 :: v_dual_mov_b32 v17, v10
	v_dual_mov_b32 v19, v16 :: v_dual_mov_b32 v16, v9
; %bb.19:                               ;   in Loop: Header=BB9_14 Depth=1
	s_or_b32 exec_lo, exec_lo, s0
	s_delay_alu instid0(VALU_DEP_2) | instskip(NEXT) | instid1(VALU_DEP_3)
	v_mul_lo_u32 v9, 0x38f, v17
	v_mul_lo_u32 v10, 0x161, v18
	s_waitcnt lgkmcnt(0)
	s_load_b32 s1, s[14:15], 0x0
	v_mul_lo_u32 v11, 0x1f01, v16
	v_mul_lo_u32 v12, 0xb9b, v19
	s_mov_b32 s0, exec_lo
	s_delay_alu instid0(VALU_DEP_3) | instskip(NEXT) | instid1(VALU_DEP_1)
	v_xor_b32_e32 v9, v9, v10
	v_xor3_b32 v10, v9, v12, v11
                                        ; implicit-def: $vgpr12_vgpr13
	s_delay_alu instid0(VALU_DEP_1)
	v_ashrrev_i32_e32 v11, 31, v10
	s_waitcnt lgkmcnt(0)
	s_ashr_i32 s34, s1, 31
	s_delay_alu instid0(VALU_DEP_1) | instid1(SALU_CYCLE_1)
	v_or_b32_e32 v9, s34, v11
	s_delay_alu instid0(VALU_DEP_1)
	v_cmpx_ne_u64_e32 0, v[8:9]
	s_xor_b32 s33, exec_lo, s0
	s_cbranch_execz .LBB9_21
; %bb.20:                               ;   in Loop: Header=BB9_14 Depth=1
	v_cvt_f32_u32_e32 v9, s1
	v_cvt_f32_u32_e32 v12, s34
	s_sub_u32 s0, 0, s1
	s_subb_u32 s35, 0, s34
	s_delay_alu instid0(VALU_DEP_1) | instskip(NEXT) | instid1(VALU_DEP_1)
	v_fmac_f32_e32 v9, 0x4f800000, v12
	v_rcp_f32_e32 v9, v9
	s_waitcnt_depctr 0xfff
	v_mul_f32_e32 v9, 0x5f7ffffc, v9
	s_delay_alu instid0(VALU_DEP_1) | instskip(NEXT) | instid1(VALU_DEP_1)
	v_mul_f32_e32 v12, 0x2f800000, v9
	v_trunc_f32_e32 v12, v12
	s_delay_alu instid0(VALU_DEP_1) | instskip(SKIP_1) | instid1(VALU_DEP_2)
	v_fmac_f32_e32 v9, 0xcf800000, v12
	v_cvt_u32_f32_e32 v12, v12
	v_cvt_u32_f32_e32 v9, v9
	s_delay_alu instid0(VALU_DEP_2) | instskip(NEXT) | instid1(VALU_DEP_2)
	v_mul_lo_u32 v13, s0, v12
	v_mul_hi_u32 v14, s0, v9
	v_mul_lo_u32 v20, s35, v9
	s_delay_alu instid0(VALU_DEP_2) | instskip(SKIP_1) | instid1(VALU_DEP_2)
	v_add_nc_u32_e32 v13, v14, v13
	v_mul_lo_u32 v14, s0, v9
	v_add_nc_u32_e32 v13, v13, v20
	s_delay_alu instid0(VALU_DEP_2) | instskip(NEXT) | instid1(VALU_DEP_2)
	v_mul_hi_u32 v20, v9, v14
	v_mul_lo_u32 v21, v9, v13
	v_mul_hi_u32 v22, v9, v13
	v_mul_hi_u32 v23, v12, v14
	v_mul_lo_u32 v14, v12, v14
	v_mul_hi_u32 v24, v12, v13
	v_mul_lo_u32 v13, v12, v13
	v_add_co_u32 v20, vcc_lo, v20, v21
	v_add_co_ci_u32_e32 v21, vcc_lo, 0, v22, vcc_lo
	s_delay_alu instid0(VALU_DEP_2) | instskip(NEXT) | instid1(VALU_DEP_2)
	v_add_co_u32 v14, vcc_lo, v20, v14
	v_add_co_ci_u32_e32 v14, vcc_lo, v21, v23, vcc_lo
	v_add_co_ci_u32_e32 v20, vcc_lo, 0, v24, vcc_lo
	s_delay_alu instid0(VALU_DEP_2) | instskip(NEXT) | instid1(VALU_DEP_2)
	v_add_co_u32 v13, vcc_lo, v14, v13
	v_add_co_ci_u32_e32 v14, vcc_lo, 0, v20, vcc_lo
	s_delay_alu instid0(VALU_DEP_2) | instskip(NEXT) | instid1(VALU_DEP_2)
	v_add_co_u32 v9, vcc_lo, v9, v13
	v_add_co_ci_u32_e32 v12, vcc_lo, v12, v14, vcc_lo
	s_delay_alu instid0(VALU_DEP_2) | instskip(SKIP_1) | instid1(VALU_DEP_3)
	v_mul_hi_u32 v13, s0, v9
	v_mul_lo_u32 v20, s35, v9
	v_mul_lo_u32 v14, s0, v12
	s_delay_alu instid0(VALU_DEP_1) | instskip(SKIP_1) | instid1(VALU_DEP_2)
	v_add_nc_u32_e32 v13, v13, v14
	v_mul_lo_u32 v14, s0, v9
	v_add_nc_u32_e32 v13, v13, v20
	s_delay_alu instid0(VALU_DEP_2) | instskip(NEXT) | instid1(VALU_DEP_2)
	v_mul_hi_u32 v20, v9, v14
	v_mul_lo_u32 v21, v9, v13
	v_mul_hi_u32 v22, v9, v13
	v_mul_hi_u32 v23, v12, v14
	v_mul_lo_u32 v14, v12, v14
	v_mul_hi_u32 v24, v12, v13
	v_mul_lo_u32 v13, v12, v13
	v_add_co_u32 v20, vcc_lo, v20, v21
	v_add_co_ci_u32_e32 v21, vcc_lo, 0, v22, vcc_lo
	s_delay_alu instid0(VALU_DEP_2) | instskip(NEXT) | instid1(VALU_DEP_2)
	v_add_co_u32 v14, vcc_lo, v20, v14
	v_add_co_ci_u32_e32 v14, vcc_lo, v21, v23, vcc_lo
	v_add_co_ci_u32_e32 v20, vcc_lo, 0, v24, vcc_lo
	s_delay_alu instid0(VALU_DEP_2) | instskip(NEXT) | instid1(VALU_DEP_2)
	v_add_co_u32 v13, vcc_lo, v14, v13
	v_add_co_ci_u32_e32 v14, vcc_lo, 0, v20, vcc_lo
	s_delay_alu instid0(VALU_DEP_2) | instskip(NEXT) | instid1(VALU_DEP_2)
	v_add_co_u32 v9, vcc_lo, v9, v13
	v_add_co_ci_u32_e32 v14, vcc_lo, v12, v14, vcc_lo
	s_delay_alu instid0(VALU_DEP_2) | instskip(SKIP_1) | instid1(VALU_DEP_3)
	v_mul_hi_u32 v24, v10, v9
	v_mad_u64_u32 v[20:21], null, v11, v9, 0
	v_mad_u64_u32 v[12:13], null, v10, v14, 0
	;; [unrolled: 1-line block ×3, first 2 shown]
	s_delay_alu instid0(VALU_DEP_2) | instskip(NEXT) | instid1(VALU_DEP_3)
	v_add_co_u32 v9, vcc_lo, v24, v12
	v_add_co_ci_u32_e32 v12, vcc_lo, 0, v13, vcc_lo
	s_delay_alu instid0(VALU_DEP_2) | instskip(NEXT) | instid1(VALU_DEP_2)
	v_add_co_u32 v9, vcc_lo, v9, v20
	v_add_co_ci_u32_e32 v9, vcc_lo, v12, v21, vcc_lo
	v_add_co_ci_u32_e32 v12, vcc_lo, 0, v23, vcc_lo
	s_delay_alu instid0(VALU_DEP_2) | instskip(NEXT) | instid1(VALU_DEP_2)
	v_add_co_u32 v9, vcc_lo, v9, v22
	v_add_co_ci_u32_e32 v14, vcc_lo, 0, v12, vcc_lo
	s_delay_alu instid0(VALU_DEP_2) | instskip(SKIP_1) | instid1(VALU_DEP_3)
	v_mul_lo_u32 v20, s34, v9
	v_mad_u64_u32 v[12:13], null, s1, v9, 0
	v_mul_lo_u32 v9, s1, v14
	s_delay_alu instid0(VALU_DEP_2) | instskip(NEXT) | instid1(VALU_DEP_2)
	v_sub_co_u32 v10, vcc_lo, v10, v12
	v_add3_u32 v9, v13, v9, v20
	s_delay_alu instid0(VALU_DEP_1) | instskip(NEXT) | instid1(VALU_DEP_1)
	v_sub_nc_u32_e32 v13, v11, v9
	v_subrev_co_ci_u32_e64 v12, s0, s34, v13, vcc_lo
	v_sub_co_ci_u32_e32 v9, vcc_lo, v11, v9, vcc_lo
	v_sub_co_u32 v11, vcc_lo, v10, s1
	s_delay_alu instid0(VALU_DEP_1) | instskip(SKIP_3) | instid1(VALU_DEP_3)
	v_subrev_co_ci_u32_e64 v13, s0, 0, v12, vcc_lo
	v_cmp_le_u32_e64 s0, s1, v10
	v_subrev_co_ci_u32_e32 v12, vcc_lo, s34, v12, vcc_lo
	v_cmp_le_u32_e32 vcc_lo, s34, v9
	v_cndmask_b32_e64 v14, 0, -1, s0
	v_cmp_le_u32_e64 s0, s1, v11
	v_cndmask_b32_e64 v22, 0, -1, vcc_lo
	v_cmp_eq_u32_e32 vcc_lo, s34, v13
	s_delay_alu instid0(VALU_DEP_3) | instskip(SKIP_1) | instid1(VALU_DEP_1)
	v_cndmask_b32_e64 v20, 0, -1, s0
	v_cmp_le_u32_e64 s0, s34, v13
	v_cndmask_b32_e64 v21, 0, -1, s0
	v_cmp_eq_u32_e64 s0, s34, v9
	s_delay_alu instid0(VALU_DEP_2) | instskip(SKIP_2) | instid1(VALU_DEP_3)
	v_cndmask_b32_e32 v20, v21, v20, vcc_lo
	v_sub_co_u32 v21, vcc_lo, v11, s1
	v_subrev_co_ci_u32_e32 v12, vcc_lo, 0, v12, vcc_lo
	v_cmp_ne_u32_e32 vcc_lo, 0, v20
	v_cndmask_b32_e64 v14, v22, v14, s0
	s_delay_alu instid0(VALU_DEP_3) | instskip(NEXT) | instid1(VALU_DEP_2)
	v_dual_cndmask_b32 v12, v13, v12 :: v_dual_cndmask_b32 v11, v11, v21
	v_cmp_ne_u32_e32 vcc_lo, 0, v14
	s_delay_alu instid0(VALU_DEP_2)
	v_dual_cndmask_b32 v13, v9, v12 :: v_dual_cndmask_b32 v12, v10, v11
                                        ; implicit-def: $vgpr10_vgpr11
.LBB9_21:                               ;   in Loop: Header=BB9_14 Depth=1
	s_and_not1_saveexec_b32 s0, s33
	s_cbranch_execz .LBB9_23
; %bb.22:                               ;   in Loop: Header=BB9_14 Depth=1
	v_cvt_f32_u32_e32 v9, s1
	s_sub_i32 s33, 0, s1
	v_mov_b32_e32 v13, v8
	s_delay_alu instid0(VALU_DEP_2) | instskip(SKIP_2) | instid1(VALU_DEP_1)
	v_rcp_iflag_f32_e32 v9, v9
	s_waitcnt_depctr 0xfff
	v_mul_f32_e32 v9, 0x4f7ffffe, v9
	v_cvt_u32_f32_e32 v9, v9
	s_delay_alu instid0(VALU_DEP_1) | instskip(NEXT) | instid1(VALU_DEP_1)
	v_mul_lo_u32 v11, s33, v9
	v_mul_hi_u32 v11, v9, v11
	s_delay_alu instid0(VALU_DEP_1) | instskip(NEXT) | instid1(VALU_DEP_1)
	v_add_nc_u32_e32 v9, v9, v11
	v_mul_hi_u32 v9, v10, v9
	s_delay_alu instid0(VALU_DEP_1) | instskip(NEXT) | instid1(VALU_DEP_1)
	v_mul_lo_u32 v9, v9, s1
	v_sub_nc_u32_e32 v9, v10, v9
	s_delay_alu instid0(VALU_DEP_1) | instskip(SKIP_1) | instid1(VALU_DEP_2)
	v_subrev_nc_u32_e32 v10, s1, v9
	v_cmp_le_u32_e32 vcc_lo, s1, v9
	v_cndmask_b32_e32 v9, v9, v10, vcc_lo
	s_delay_alu instid0(VALU_DEP_1) | instskip(SKIP_1) | instid1(VALU_DEP_2)
	v_subrev_nc_u32_e32 v10, s1, v9
	v_cmp_le_u32_e32 vcc_lo, s1, v9
	v_cndmask_b32_e32 v12, v9, v10, vcc_lo
.LBB9_23:                               ;   in Loop: Header=BB9_14 Depth=1
	s_or_b32 exec_lo, exec_lo, s0
	s_delay_alu instid0(VALU_DEP_1) | instskip(SKIP_2) | instid1(VALU_DEP_2)
	v_lshlrev_b64 v[9:10], 3, v[12:13]
	v_mov_b32_e32 v13, -1
	s_mov_b32 s0, exec_lo
	v_add_co_u32 v9, vcc_lo, s18, v9
	s_delay_alu instid0(VALU_DEP_3)
	v_add_co_ci_u32_e32 v10, vcc_lo, s19, v10, vcc_lo
	global_load_b32 v10, v[9:10], off offset:4
	s_waitcnt vmcnt(0)
	v_cmpx_ne_u32_e32 -1, v10
	s_cbranch_execz .LBB9_37
; %bb.24:                               ;   in Loop: Header=BB9_14 Depth=1
	s_mov_b32 s1, 0
                                        ; implicit-def: $vgpr20
	s_branch .LBB9_26
.LBB9_25:                               ;   in Loop: Header=BB9_26 Depth=2
	s_or_b32 exec_lo, exec_lo, s34
	v_mov_b32_e32 v20, v9
	s_and_b32 s33, exec_lo, s33
	s_delay_alu instid0(SALU_CYCLE_1) | instskip(NEXT) | instid1(SALU_CYCLE_1)
	s_or_b32 s1, s33, s1
	s_and_not1_b32 exec_lo, exec_lo, s1
	s_cbranch_execz .LBB9_36
.LBB9_26:                               ;   Parent Loop BB9_14 Depth=1
                                        ; =>  This Inner Loop Header: Depth=2
	v_ashrrev_i32_e32 v11, 31, v10
	s_mov_b32 s34, exec_lo
                                        ; implicit-def: $sgpr35
	s_delay_alu instid0(VALU_DEP_1) | instskip(NEXT) | instid1(VALU_DEP_1)
	v_lshlrev_b64 v[9:10], 3, v[10:11]
	v_add_co_u32 v11, vcc_lo, s18, v9
	s_delay_alu instid0(VALU_DEP_2) | instskip(SKIP_3) | instid1(VALU_DEP_1)
	v_add_co_ci_u32_e32 v12, vcc_lo, s19, v10, vcc_lo
	global_load_b32 v9, v[11:12], off
	s_waitcnt vmcnt(0)
	v_ashrrev_i32_e32 v10, 31, v9
	v_lshlrev_b64 v[13:14], 2, v[9:10]
	s_delay_alu instid0(VALU_DEP_1) | instskip(NEXT) | instid1(VALU_DEP_2)
	v_add_co_u32 v21, vcc_lo, s6, v13
	v_add_co_ci_u32_e32 v22, vcc_lo, s7, v14, vcc_lo
	global_load_b32 v10, v[21:22], off
	s_waitcnt vmcnt(0)
	v_cmp_ne_u32_e64 s33, v10, v16
	v_cmpx_eq_u32_e64 v10, v16
	s_cbranch_execz .LBB9_32
; %bb.27:                               ;   in Loop: Header=BB9_26 Depth=2
	v_add_co_u32 v21, vcc_lo, s8, v13
	v_add_co_ci_u32_e32 v22, vcc_lo, s9, v14, vcc_lo
	s_mov_b32 s37, exec_lo
                                        ; implicit-def: $sgpr35
	global_load_b32 v10, v[21:22], off
	s_waitcnt vmcnt(0)
	v_cmp_ne_u32_e64 s36, v10, v19
	v_cmpx_eq_u32_e64 v10, v19
	s_cbranch_execz .LBB9_31
; %bb.28:                               ;   in Loop: Header=BB9_26 Depth=2
	v_add_co_u32 v21, vcc_lo, s10, v13
	v_add_co_ci_u32_e32 v22, vcc_lo, s11, v14, vcc_lo
	s_mov_b32 s39, exec_lo
                                        ; implicit-def: $sgpr35
	global_load_b32 v10, v[21:22], off
	s_waitcnt vmcnt(0)
	v_cmp_ne_u32_e64 s38, v10, v17
	v_cmpx_eq_u32_e64 v10, v17
	s_cbranch_execz .LBB9_30
; %bb.29:                               ;   in Loop: Header=BB9_26 Depth=2
	v_add_co_u32 v13, vcc_lo, s12, v13
	v_add_co_ci_u32_e32 v14, vcc_lo, s13, v14, vcc_lo
	s_and_not1_b32 s38, s38, exec_lo
	s_mov_b32 s35, 0
	global_load_b32 v10, v[13:14], off
	s_waitcnt vmcnt(0)
	v_cmp_ne_u32_e32 vcc_lo, v10, v18
	s_and_b32 s40, vcc_lo, exec_lo
	s_delay_alu instid0(SALU_CYCLE_1)
	s_or_b32 s38, s38, s40
.LBB9_30:                               ;   in Loop: Header=BB9_26 Depth=2
	s_or_b32 exec_lo, exec_lo, s39
	s_delay_alu instid0(SALU_CYCLE_1) | instskip(SKIP_1) | instid1(SALU_CYCLE_1)
	s_and_not1_b32 s36, s36, exec_lo
	s_and_b32 s38, s38, exec_lo
	s_or_b32 s36, s36, s38
.LBB9_31:                               ;   in Loop: Header=BB9_26 Depth=2
	s_or_b32 exec_lo, exec_lo, s37
	s_delay_alu instid0(SALU_CYCLE_1) | instskip(SKIP_1) | instid1(SALU_CYCLE_1)
	s_and_not1_b32 s33, s33, exec_lo
	s_and_b32 s36, s36, exec_lo
	s_or_b32 s33, s33, s36
.LBB9_32:                               ;   in Loop: Header=BB9_26 Depth=2
	s_or_b32 exec_lo, exec_lo, s34
	s_delay_alu instid0(VALU_DEP_2)
	s_and_saveexec_b32 s34, s33
; %bb.33:                               ;   in Loop: Header=BB9_26 Depth=2
	v_mov_b32_e32 v9, v20
	s_or_b32 s35, s35, exec_lo
; %bb.34:                               ;   in Loop: Header=BB9_26 Depth=2
	s_or_b32 exec_lo, exec_lo, s34
	s_delay_alu instid0(VALU_DEP_1)
	v_mov_b32_e32 v13, v9
	s_mov_b32 s33, -1
                                        ; implicit-def: $vgpr10
	s_and_saveexec_b32 s34, s35
	s_cbranch_execz .LBB9_25
; %bb.35:                               ;   in Loop: Header=BB9_26 Depth=2
	global_load_b32 v10, v[11:12], off offset:4
	v_mov_b32_e32 v13, -1
	s_waitcnt vmcnt(0)
	v_cmp_eq_u32_e32 vcc_lo, -1, v10
	s_or_not1_b32 s33, vcc_lo, exec_lo
	s_branch .LBB9_25
.LBB9_36:                               ;   in Loop: Header=BB9_14 Depth=1
	s_or_b32 exec_lo, exec_lo, s1
.LBB9_37:                               ;   in Loop: Header=BB9_14 Depth=1
	s_delay_alu instid0(SALU_CYCLE_1)
	s_or_b32 exec_lo, exec_lo, s0
	v_cmp_ne_u32_e32 vcc_lo, -1, v13
	s_and_b32 exec_lo, exec_lo, vcc_lo
	s_cbranch_execz .LBB9_13
; %bb.38:                               ;   in Loop: Header=BB9_14 Depth=1
	s_lshl_b32 s0, s4, 2
	s_delay_alu instid0(SALU_CYCLE_1)
	v_add_nc_u32_e32 v9, s0, v15
	scratch_store_b32 v9, v13, off
	s_branch .LBB9_13
.LBB9_39:
	s_or_b32 exec_lo, exec_lo, s21
	v_lshl_add_u32 v42, v0, 2, 0
	v_add_nc_u32_e32 v3, 1, v3
	scratch_load_b32 v2, v42, off
	s_waitcnt vmcnt(0)
	v_cmp_ne_u32_e32 vcc_lo, v2, v3
	s_and_b32 exec_lo, exec_lo, vcc_lo
	s_cbranch_execz .LBB9_41
; %bb.40:
	s_clause 0x1
	s_load_b128 s[40:43], s[2:3], 0x48
	s_load_b64 s[38:39], s[2:3], 0x58
	s_mov_b64 s[0:1], src_private_base
	v_dual_mov_b32 v2, s16 :: v_dual_mov_b32 v3, s17
	v_dual_mov_b32 v4, 0 :: v_dual_mov_b32 v5, s1
	;; [unrolled: 1-line block ×6, first 2 shown]
	v_mov_b32_e32 v15, s13
	s_getpc_b64 s[2:3]
	s_add_u32 s2, s2, _Z10BuildSubgriiPN2rw7LibraryEPimS2_S2_S2_S2_S2_PNS_9TableNodeEi@rel32@lo+4
	s_addc_u32 s3, s3, _Z10BuildSubgriiPN2rw7LibraryEPimS2_S2_S2_S2_S2_PNS_9TableNodeEi@rel32@hi+12
	v_mov_b32_e32 v20, s20
	s_waitcnt lgkmcnt(0)
	v_dual_mov_b32 v16, s42 :: v_dual_mov_b32 v17, s43
	v_dual_mov_b32 v18, s40 :: v_dual_mov_b32 v19, s41
	s_swappc_b64 s[30:31], s[2:3]
	scratch_load_b32 v0, v42, off
	s_waitcnt vmcnt(0)
	v_ashrrev_i32_e32 v1, 31, v0
	s_delay_alu instid0(VALU_DEP_1) | instskip(SKIP_1) | instid1(VALU_DEP_2)
	v_lshlrev_b64 v[1:2], 2, v[0:1]
	v_lshlrev_b32_e32 v0, 1, v0
	v_add_co_u32 v1, vcc_lo, s42, v1
	s_delay_alu instid0(VALU_DEP_3)
	v_add_co_ci_u32_e32 v2, vcc_lo, s43, v2, vcc_lo
	v_add_co_u32 v3, vcc_lo, s42, v40
	v_add_co_ci_u32_e32 v4, vcc_lo, s43, v41, vcc_lo
	s_clause 0x1
	global_load_b32 v1, v[1:2], off
	global_load_b32 v2, v[3:4], off offset:4
	s_waitcnt vmcnt(0)
	v_xad_u32 v2, v2, v1, v0
	v_add_co_u32 v0, vcc_lo, s38, v40
	v_add_co_ci_u32_e32 v1, vcc_lo, s39, v41, vcc_lo
	global_store_b32 v[0:1], v2, off offset:4
.LBB9_41:
	s_endpgm
	.section	.rodata,"a",@progbits
	.p2align	6, 0x0
	.amdhsa_kernel _Z12ReplaceSubgriPiS_S_S_S_PN2rw3CutEPNS0_7LibraryEPNS0_9TableNodeES6_S_S_
		.amdhsa_group_segment_fixed_size 28672
		.amdhsa_private_segment_fixed_size 336
		.amdhsa_kernarg_size 352
		.amdhsa_user_sgpr_count 15
		.amdhsa_user_sgpr_dispatch_ptr 1
		.amdhsa_user_sgpr_queue_ptr 0
		.amdhsa_user_sgpr_kernarg_segment_ptr 1
		.amdhsa_user_sgpr_dispatch_id 0
		.amdhsa_user_sgpr_private_segment_size 0
		.amdhsa_wavefront_size32 1
		.amdhsa_uses_dynamic_stack 1
		.amdhsa_enable_private_segment 1
		.amdhsa_system_sgpr_workgroup_id_x 1
		.amdhsa_system_sgpr_workgroup_id_y 0
		.amdhsa_system_sgpr_workgroup_id_z 0
		.amdhsa_system_sgpr_workgroup_info 0
		.amdhsa_system_vgpr_workitem_id 2
		.amdhsa_next_free_vgpr 91
		.amdhsa_next_free_sgpr 44
		.amdhsa_reserve_vcc 1
		.amdhsa_float_round_mode_32 0
		.amdhsa_float_round_mode_16_64 0
		.amdhsa_float_denorm_mode_32 3
		.amdhsa_float_denorm_mode_16_64 3
		.amdhsa_dx10_clamp 1
		.amdhsa_ieee_mode 1
		.amdhsa_fp16_overflow 0
		.amdhsa_workgroup_processor_mode 1
		.amdhsa_memory_ordered 1
		.amdhsa_forward_progress 0
		.amdhsa_shared_vgpr_count 0
		.amdhsa_exception_fp_ieee_invalid_op 0
		.amdhsa_exception_fp_denorm_src 0
		.amdhsa_exception_fp_ieee_div_zero 0
		.amdhsa_exception_fp_ieee_overflow 0
		.amdhsa_exception_fp_ieee_underflow 0
		.amdhsa_exception_fp_ieee_inexact 0
		.amdhsa_exception_int_div_zero 0
	.end_amdhsa_kernel
	.text
.Lfunc_end9:
	.size	_Z12ReplaceSubgriPiS_S_S_S_PN2rw3CutEPNS0_7LibraryEPNS0_9TableNodeES6_S_S_, .Lfunc_end9-_Z12ReplaceSubgriPiS_S_S_S_PN2rw3CutEPNS0_7LibraryEPNS0_9TableNodeES6_S_S_
                                        ; -- End function
	.section	.AMDGPU.csdata,"",@progbits
; Kernel info:
; codeLenInByte = 3440
; NumSgprs: 46
; NumVgprs: 91
; ScratchSize: 336
; MemoryBound: 0
; FloatMode: 240
; IeeeMode: 1
; LDSByteSize: 28672 bytes/workgroup (compile time only)
; SGPRBlocks: 5
; VGPRBlocks: 11
; NumSGPRsForWavesPerEU: 46
; NumVGPRsForWavesPerEU: 91
; Occupancy: 16
; WaveLimiterHint : 1
; COMPUTE_PGM_RSRC2:SCRATCH_EN: 1
; COMPUTE_PGM_RSRC2:USER_SGPR: 15
; COMPUTE_PGM_RSRC2:TRAP_HANDLER: 0
; COMPUTE_PGM_RSRC2:TGID_X_EN: 1
; COMPUTE_PGM_RSRC2:TGID_Y_EN: 0
; COMPUTE_PGM_RSRC2:TGID_Z_EN: 0
; COMPUTE_PGM_RSRC2:TIDIG_COMP_CNT: 2
	.text
	.protected	_Z15DetachAndAttachiPiS_S_ ; -- Begin function _Z15DetachAndAttachiPiS_S_
	.globl	_Z15DetachAndAttachiPiS_S_
	.p2align	8
	.type	_Z15DetachAndAttachiPiS_S_,@function
_Z15DetachAndAttachiPiS_S_:             ; @_Z15DetachAndAttachiPiS_S_
; %bb.0:
	s_clause 0x1
	s_load_b32 s2, s[0:1], 0x2c
	s_load_b32 s3, s[0:1], 0x0
	s_waitcnt lgkmcnt(0)
	s_and_b32 s2, s2, 0xffff
	s_delay_alu instid0(SALU_CYCLE_1) | instskip(SKIP_1) | instid1(VALU_DEP_1)
	v_mad_u64_u32 v[1:2], null, s15, s2, v[0:1]
	s_mov_b32 s2, exec_lo
	v_cmpx_gt_u32_e64 s3, v1
	s_cbranch_execz .LBB10_3
; %bb.1:
	s_load_b64 s[2:3], s[0:1], 0x18
	v_ashrrev_i32_e32 v2, 31, v1
	s_delay_alu instid0(VALU_DEP_1) | instskip(SKIP_1) | instid1(VALU_DEP_1)
	v_lshlrev_b64 v[0:1], 2, v[1:2]
	s_waitcnt lgkmcnt(0)
	v_add_co_u32 v2, vcc_lo, s2, v0
	s_delay_alu instid0(VALU_DEP_2)
	v_add_co_ci_u32_e32 v3, vcc_lo, s3, v1, vcc_lo
	global_load_b32 v4, v[2:3], off offset:4
	s_waitcnt vmcnt(0)
	v_cmp_ne_u32_e32 vcc_lo, -1, v4
	s_and_b32 exec_lo, exec_lo, vcc_lo
	s_cbranch_execz .LBB10_3
; %bb.2:
	s_load_b128 s[0:3], s[0:1], 0x8
	v_mov_b32_e32 v6, 1
	s_waitcnt lgkmcnt(0)
	v_add_co_u32 v4, vcc_lo, s0, v0
	v_add_co_ci_u32_e32 v5, vcc_lo, s1, v1, vcc_lo
	v_add_co_u32 v0, vcc_lo, s2, v0
	v_add_co_ci_u32_e32 v1, vcc_lo, s3, v1, vcc_lo
	global_store_b32 v[4:5], v6, off offset:4
	global_load_b32 v2, v[2:3], off offset:4
	s_waitcnt vmcnt(0)
	global_store_b32 v[0:1], v2, off offset:4
.LBB10_3:
	s_nop 0
	s_sendmsg sendmsg(MSG_DEALLOC_VGPRS)
	s_endpgm
	.section	.rodata,"a",@progbits
	.p2align	6, 0x0
	.amdhsa_kernel _Z15DetachAndAttachiPiS_S_
		.amdhsa_group_segment_fixed_size 0
		.amdhsa_private_segment_fixed_size 0
		.amdhsa_kernarg_size 288
		.amdhsa_user_sgpr_count 15
		.amdhsa_user_sgpr_dispatch_ptr 0
		.amdhsa_user_sgpr_queue_ptr 0
		.amdhsa_user_sgpr_kernarg_segment_ptr 1
		.amdhsa_user_sgpr_dispatch_id 0
		.amdhsa_user_sgpr_private_segment_size 0
		.amdhsa_wavefront_size32 1
		.amdhsa_uses_dynamic_stack 0
		.amdhsa_enable_private_segment 0
		.amdhsa_system_sgpr_workgroup_id_x 1
		.amdhsa_system_sgpr_workgroup_id_y 0
		.amdhsa_system_sgpr_workgroup_id_z 0
		.amdhsa_system_sgpr_workgroup_info 0
		.amdhsa_system_vgpr_workitem_id 0
		.amdhsa_next_free_vgpr 7
		.amdhsa_next_free_sgpr 16
		.amdhsa_reserve_vcc 1
		.amdhsa_float_round_mode_32 0
		.amdhsa_float_round_mode_16_64 0
		.amdhsa_float_denorm_mode_32 3
		.amdhsa_float_denorm_mode_16_64 3
		.amdhsa_dx10_clamp 1
		.amdhsa_ieee_mode 1
		.amdhsa_fp16_overflow 0
		.amdhsa_workgroup_processor_mode 1
		.amdhsa_memory_ordered 1
		.amdhsa_forward_progress 0
		.amdhsa_shared_vgpr_count 0
		.amdhsa_exception_fp_ieee_invalid_op 0
		.amdhsa_exception_fp_denorm_src 0
		.amdhsa_exception_fp_ieee_div_zero 0
		.amdhsa_exception_fp_ieee_overflow 0
		.amdhsa_exception_fp_ieee_underflow 0
		.amdhsa_exception_fp_ieee_inexact 0
		.amdhsa_exception_int_div_zero 0
	.end_amdhsa_kernel
	.text
.Lfunc_end10:
	.size	_Z15DetachAndAttachiPiS_S_, .Lfunc_end10-_Z15DetachAndAttachiPiS_S_
                                        ; -- End function
	.section	.AMDGPU.csdata,"",@progbits
; Kernel info:
; codeLenInByte = 208
; NumSgprs: 18
; NumVgprs: 7
; ScratchSize: 0
; MemoryBound: 0
; FloatMode: 240
; IeeeMode: 1
; LDSByteSize: 0 bytes/workgroup (compile time only)
; SGPRBlocks: 2
; VGPRBlocks: 0
; NumSGPRsForWavesPerEU: 18
; NumVGPRsForWavesPerEU: 7
; Occupancy: 16
; WaveLimiterHint : 0
; COMPUTE_PGM_RSRC2:SCRATCH_EN: 0
; COMPUTE_PGM_RSRC2:USER_SGPR: 15
; COMPUTE_PGM_RSRC2:TRAP_HANDLER: 0
; COMPUTE_PGM_RSRC2:TGID_X_EN: 1
; COMPUTE_PGM_RSRC2:TGID_Y_EN: 0
; COMPUTE_PGM_RSRC2:TGID_Z_EN: 0
; COMPUTE_PGM_RSRC2:TIDIG_COMP_CNT: 0
	.text
	.protected	_Z9printCutsiPN2rw3CutE ; -- Begin function _Z9printCutsiPN2rw3CutE
	.globl	_Z9printCutsiPN2rw3CutE
	.p2align	8
	.type	_Z9printCutsiPN2rw3CutE,@function
_Z9printCutsiPN2rw3CutE:                ; @_Z9printCutsiPN2rw3CutE
; %bb.0:
	s_clause 0x2
	s_load_b32 s10, s[0:1], 0x0
	s_load_b64 s[2:3], s[0:1], 0x8
	s_load_b64 s[8:9], s[0:1], 0x60
	s_mov_b32 s4, 0
	v_mbcnt_lo_u32_b32 v40, -1, 0
	v_dual_mov_b32 v1, 0 :: v_dual_mov_b32 v4, 33
	s_mov_b32 s7, s4
	s_mov_b32 s5, s4
	;; [unrolled: 1-line block ×3, first 2 shown]
	s_getpc_b64 s[0:1]
	s_add_u32 s0, s0, .str.3@rel32@lo+4
	s_addc_u32 s1, s1, .str.3@rel32@hi+12
	v_dual_mov_b32 v11, s7 :: v_dual_mov_b32 v10, s6
	v_dual_mov_b32 v2, 2 :: v_dual_mov_b32 v3, 1
	;; [unrolled: 1-line block ×3, first 2 shown]
	v_dual_mov_b32 v6, v1 :: v_dual_lshlrev_b32 v41, 6, v40
	v_mov_b32_e32 v5, v1
	v_mov_b32_e32 v7, v1
	s_waitcnt lgkmcnt(0)
	s_lshl_b32 s20, s10, 3
	s_cmp_lg_u64 s[0:1], 0
	s_mov_b32 s22, s4
	s_cselect_b32 s21, -1, 0
	s_branch .LBB11_2
.LBB11_1:                               ;   in Loop: Header=BB11_2 Depth=1
	s_or_b32 exec_lo, exec_lo, s1
	s_add_i32 s22, s22, 1
	s_delay_alu instid0(SALU_CYCLE_1)
	s_cmp_eq_u32 s22, 8
	s_cbranch_scc1 .LBB11_343
.LBB11_2:                               ; =>This Loop Header: Depth=1
                                        ;     Child Loop BB11_5 Depth 2
                                        ;     Child Loop BB11_13 Depth 2
	;; [unrolled: 1-line block ×9, first 2 shown]
                                        ;       Child Loop BB11_34 Depth 3
                                        ;       Child Loop BB11_41 Depth 3
	;; [unrolled: 1-line block ×11, first 2 shown]
                                        ;     Child Loop BB11_138 Depth 2
                                        ;     Child Loop BB11_146 Depth 2
                                        ;     Child Loop BB11_155 Depth 2
                                        ;     Child Loop BB11_160 Depth 2
                                        ;     Child Loop BB11_164 Depth 2
                                        ;     Child Loop BB11_172 Depth 2
                                        ;     Child Loop BB11_181 Depth 2
                                        ;     Child Loop BB11_186 Depth 2
                                        ;     Child Loop BB11_190 Depth 2
                                        ;     Child Loop BB11_198 Depth 2
                                        ;     Child Loop BB11_207 Depth 2
                                        ;     Child Loop BB11_212 Depth 2
                                        ;     Child Loop BB11_216 Depth 2
                                        ;     Child Loop BB11_224 Depth 2
                                        ;     Child Loop BB11_233 Depth 2
                                        ;     Child Loop BB11_238 Depth 2
                                        ;     Child Loop BB11_242 Depth 2
                                        ;     Child Loop BB11_250 Depth 2
                                        ;     Child Loop BB11_259 Depth 2
                                        ;     Child Loop BB11_264 Depth 2
                                        ;     Child Loop BB11_268 Depth 2
                                        ;     Child Loop BB11_276 Depth 2
                                        ;     Child Loop BB11_285 Depth 2
                                        ;     Child Loop BB11_290 Depth 2
                                        ;     Child Loop BB11_294 Depth 2
                                        ;     Child Loop BB11_302 Depth 2
                                        ;     Child Loop BB11_311 Depth 2
                                        ;     Child Loop BB11_316 Depth 2
                                        ;     Child Loop BB11_320 Depth 2
                                        ;     Child Loop BB11_328 Depth 2
                                        ;     Child Loop BB11_337 Depth 2
                                        ;     Child Loop BB11_342 Depth 2
	s_add_i32 s0, s22, s20
	v_mov_b32_e32 v20, 0
	s_mul_i32 s1, s0, 28
	s_mul_hi_i32 s10, s0, 28
	s_add_u32 s0, s2, s1
	s_addc_u32 s1, s3, s10
	v_mov_b32_e32 v21, 0
	s_clause 0x2
	global_load_u8 v43, v1, s[0:1] offset:24
	global_load_b32 v42, v1, s[0:1] offset:20
	global_load_b128 v[12:15], v1, s[0:1] offset:4
	v_readfirstlane_b32 s0, v40
	s_delay_alu instid0(VALU_DEP_1) | instskip(NEXT) | instid1(VALU_DEP_1)
	v_cmp_eq_u32_e64 s0, s0, v40
	s_and_saveexec_b32 s1, s0
	s_cbranch_execz .LBB11_8
; %bb.3:                                ;   in Loop: Header=BB11_2 Depth=1
	global_load_b64 v[18:19], v1, s[8:9] offset:24 glc
	s_waitcnt vmcnt(0)
	buffer_gl1_inv
	buffer_gl0_inv
	s_clause 0x1
	global_load_b64 v[16:17], v1, s[8:9] offset:40
	global_load_b64 v[20:21], v1, s[8:9]
	s_mov_b32 s10, exec_lo
	s_waitcnt vmcnt(1)
	v_and_b32_e32 v0, v17, v19
	v_and_b32_e32 v16, v16, v18
	s_delay_alu instid0(VALU_DEP_2) | instskip(NEXT) | instid1(VALU_DEP_2)
	v_mul_lo_u32 v0, v0, 24
	v_mul_hi_u32 v17, v16, 24
	v_mul_lo_u32 v16, v16, 24
	s_delay_alu instid0(VALU_DEP_2) | instskip(SKIP_1) | instid1(VALU_DEP_2)
	v_add_nc_u32_e32 v0, v17, v0
	s_waitcnt vmcnt(0)
	v_add_co_u32 v16, vcc_lo, v20, v16
	s_delay_alu instid0(VALU_DEP_2)
	v_add_co_ci_u32_e32 v17, vcc_lo, v21, v0, vcc_lo
	global_load_b64 v[16:17], v[16:17], off glc
	s_waitcnt vmcnt(0)
	global_atomic_cmpswap_b64 v[20:21], v1, v[16:19], s[8:9] offset:24 glc
	s_waitcnt vmcnt(0)
	buffer_gl1_inv
	buffer_gl0_inv
	v_cmpx_ne_u64_e64 v[20:21], v[18:19]
	s_cbranch_execz .LBB11_7
; %bb.4:                                ;   in Loop: Header=BB11_2 Depth=1
	s_mov_b32 s11, 0
	.p2align	6
.LBB11_5:                               ;   Parent Loop BB11_2 Depth=1
                                        ; =>  This Inner Loop Header: Depth=2
	s_sleep 1
	s_clause 0x1
	global_load_b64 v[16:17], v1, s[8:9] offset:40
	global_load_b64 v[22:23], v1, s[8:9]
	v_dual_mov_b32 v18, v20 :: v_dual_mov_b32 v19, v21
	s_waitcnt vmcnt(1)
	s_delay_alu instid0(VALU_DEP_1) | instskip(SKIP_1) | instid1(VALU_DEP_1)
	v_and_b32_e32 v0, v16, v18
	s_waitcnt vmcnt(0)
	v_mad_u64_u32 v[20:21], null, v0, 24, v[22:23]
	v_and_b32_e32 v22, v17, v19
	s_delay_alu instid0(VALU_DEP_2) | instskip(NEXT) | instid1(VALU_DEP_1)
	v_mov_b32_e32 v0, v21
	v_mad_u64_u32 v[16:17], null, v22, 24, v[0:1]
	s_delay_alu instid0(VALU_DEP_1)
	v_mov_b32_e32 v21, v16
	global_load_b64 v[16:17], v[20:21], off glc
	s_waitcnt vmcnt(0)
	global_atomic_cmpswap_b64 v[20:21], v1, v[16:19], s[8:9] offset:24 glc
	s_waitcnt vmcnt(0)
	buffer_gl1_inv
	buffer_gl0_inv
	v_cmp_eq_u64_e32 vcc_lo, v[20:21], v[18:19]
	s_or_b32 s11, vcc_lo, s11
	s_delay_alu instid0(SALU_CYCLE_1)
	s_and_not1_b32 exec_lo, exec_lo, s11
	s_cbranch_execnz .LBB11_5
; %bb.6:                                ;   in Loop: Header=BB11_2 Depth=1
	s_or_b32 exec_lo, exec_lo, s11
.LBB11_7:                               ;   in Loop: Header=BB11_2 Depth=1
	s_delay_alu instid0(SALU_CYCLE_1)
	s_or_b32 exec_lo, exec_lo, s10
.LBB11_8:                               ;   in Loop: Header=BB11_2 Depth=1
	s_delay_alu instid0(SALU_CYCLE_1)
	s_or_b32 exec_lo, exec_lo, s1
	s_clause 0x1
	global_load_b64 v[22:23], v1, s[8:9] offset:40
	global_load_b128 v[16:19], v1, s[8:9]
	v_readfirstlane_b32 s10, v20
	v_readfirstlane_b32 s11, v21
	s_mov_b32 s1, exec_lo
	s_waitcnt vmcnt(1)
	v_readfirstlane_b32 s12, v22
	v_readfirstlane_b32 s13, v23
	s_delay_alu instid0(VALU_DEP_1) | instskip(NEXT) | instid1(SALU_CYCLE_1)
	s_and_b64 s[12:13], s[10:11], s[12:13]
	s_mul_i32 s14, s13, 24
	s_mul_hi_u32 s15, s12, 24
	s_mul_i32 s16, s12, 24
	s_add_i32 s15, s15, s14
	s_waitcnt vmcnt(0)
	v_add_co_u32 v20, vcc_lo, v16, s16
	v_add_co_ci_u32_e32 v21, vcc_lo, s15, v17, vcc_lo
	s_and_saveexec_b32 s14, s0
	s_cbranch_execz .LBB11_10
; %bb.9:                                ;   in Loop: Header=BB11_2 Depth=1
	v_mov_b32_e32 v0, s1
	global_store_b128 v[20:21], v[0:3], off offset:8
.LBB11_10:                              ;   in Loop: Header=BB11_2 Depth=1
	s_or_b32 exec_lo, exec_lo, s14
	s_lshl_b64 s[12:13], s[12:13], 12
	s_delay_alu instid0(SALU_CYCLE_1) | instskip(SKIP_1) | instid1(VALU_DEP_2)
	v_add_co_u32 v24, vcc_lo, v18, s12
	v_add_co_ci_u32_e32 v25, vcc_lo, s13, v19, vcc_lo
	v_readfirstlane_b32 s12, v24
	s_delay_alu instid0(VALU_DEP_2)
	v_readfirstlane_b32 s13, v25
	s_clause 0x3
	global_store_b128 v41, v[4:7], s[12:13]
	global_store_b128 v41, v[8:11], s[12:13] offset:16
	global_store_b128 v41, v[8:11], s[12:13] offset:32
	;; [unrolled: 1-line block ×3, first 2 shown]
	s_and_saveexec_b32 s1, s0
	s_cbranch_execz .LBB11_18
; %bb.11:                               ;   in Loop: Header=BB11_2 Depth=1
	s_clause 0x1
	global_load_b64 v[28:29], v1, s[8:9] offset:32 glc
	global_load_b64 v[18:19], v1, s[8:9] offset:40
	v_dual_mov_b32 v26, s10 :: v_dual_mov_b32 v27, s11
	s_waitcnt vmcnt(0)
	v_readfirstlane_b32 s12, v18
	v_readfirstlane_b32 s13, v19
	s_delay_alu instid0(VALU_DEP_1) | instskip(NEXT) | instid1(SALU_CYCLE_1)
	s_and_b64 s[12:13], s[12:13], s[10:11]
	s_mul_i32 s13, s13, 24
	s_mul_hi_u32 s14, s12, 24
	s_mul_i32 s12, s12, 24
	s_add_i32 s14, s14, s13
	v_add_co_u32 v22, vcc_lo, v16, s12
	v_add_co_ci_u32_e32 v23, vcc_lo, s14, v17, vcc_lo
	s_mov_b32 s12, exec_lo
	global_store_b64 v[22:23], v[28:29], off
	s_waitcnt_vscnt null, 0x0
	global_atomic_cmpswap_b64 v[18:19], v1, v[26:29], s[8:9] offset:32 glc
	s_waitcnt vmcnt(0)
	v_cmpx_ne_u64_e64 v[18:19], v[28:29]
	s_cbranch_execz .LBB11_14
; %bb.12:                               ;   in Loop: Header=BB11_2 Depth=1
	s_mov_b32 s13, 0
.LBB11_13:                              ;   Parent Loop BB11_2 Depth=1
                                        ; =>  This Inner Loop Header: Depth=2
	v_dual_mov_b32 v16, s10 :: v_dual_mov_b32 v17, s11
	s_sleep 1
	global_store_b64 v[22:23], v[18:19], off
	s_waitcnt_vscnt null, 0x0
	global_atomic_cmpswap_b64 v[16:17], v1, v[16:19], s[8:9] offset:32 glc
	s_waitcnt vmcnt(0)
	v_cmp_eq_u64_e32 vcc_lo, v[16:17], v[18:19]
	v_dual_mov_b32 v19, v17 :: v_dual_mov_b32 v18, v16
	s_or_b32 s13, vcc_lo, s13
	s_delay_alu instid0(SALU_CYCLE_1)
	s_and_not1_b32 exec_lo, exec_lo, s13
	s_cbranch_execnz .LBB11_13
.LBB11_14:                              ;   in Loop: Header=BB11_2 Depth=1
	s_or_b32 exec_lo, exec_lo, s12
	global_load_b64 v[16:17], v1, s[8:9] offset:16
	s_mov_b32 s13, exec_lo
	s_mov_b32 s12, exec_lo
	v_mbcnt_lo_u32_b32 v0, s13, 0
	s_delay_alu instid0(VALU_DEP_1)
	v_cmpx_eq_u32_e32 0, v0
	s_cbranch_execz .LBB11_16
; %bb.15:                               ;   in Loop: Header=BB11_2 Depth=1
	s_bcnt1_i32_b32 s13, s13
	s_delay_alu instid0(SALU_CYCLE_1)
	v_mov_b32_e32 v0, s13
	s_waitcnt vmcnt(0)
	global_atomic_add_u64 v[16:17], v[0:1], off offset:8
.LBB11_16:                              ;   in Loop: Header=BB11_2 Depth=1
	s_or_b32 exec_lo, exec_lo, s12
	s_waitcnt vmcnt(0)
	global_load_b64 v[18:19], v[16:17], off offset:16
	s_waitcnt vmcnt(0)
	v_cmp_eq_u64_e32 vcc_lo, 0, v[18:19]
	s_cbranch_vccnz .LBB11_18
; %bb.17:                               ;   in Loop: Header=BB11_2 Depth=1
	global_load_b32 v0, v[16:17], off offset:24
	s_waitcnt vmcnt(0)
	v_and_b32_e32 v16, 0xffffff, v0
	s_waitcnt_vscnt null, 0x0
	global_store_b64 v[18:19], v[0:1], off
	v_readfirstlane_b32 m0, v16
	s_sendmsg sendmsg(MSG_INTERRUPT)
.LBB11_18:                              ;   in Loop: Header=BB11_2 Depth=1
	s_or_b32 exec_lo, exec_lo, s1
	v_add_co_u32 v16, vcc_lo, v24, v41
	v_add_co_ci_u32_e32 v17, vcc_lo, 0, v25, vcc_lo
	s_branch .LBB11_22
	.p2align	6
.LBB11_19:                              ;   in Loop: Header=BB11_22 Depth=2
	s_or_b32 exec_lo, exec_lo, s1
	s_delay_alu instid0(VALU_DEP_1) | instskip(NEXT) | instid1(VALU_DEP_1)
	v_readfirstlane_b32 s1, v0
	s_cmp_eq_u32 s1, 0
	s_cbranch_scc1 .LBB11_21
; %bb.20:                               ;   in Loop: Header=BB11_22 Depth=2
	s_sleep 1
	s_cbranch_execnz .LBB11_22
	s_branch .LBB11_24
	.p2align	6
.LBB11_21:                              ;   in Loop: Header=BB11_2 Depth=1
	s_branch .LBB11_24
.LBB11_22:                              ;   Parent Loop BB11_2 Depth=1
                                        ; =>  This Inner Loop Header: Depth=2
	v_mov_b32_e32 v0, 1
	s_and_saveexec_b32 s1, s0
	s_cbranch_execz .LBB11_19
; %bb.23:                               ;   in Loop: Header=BB11_22 Depth=2
	global_load_b32 v0, v[20:21], off offset:20 glc
	s_waitcnt vmcnt(0)
	buffer_gl1_inv
	buffer_gl0_inv
	v_and_b32_e32 v0, 1, v0
	s_branch .LBB11_19
.LBB11_24:                              ;   in Loop: Header=BB11_2 Depth=1
	global_load_b64 v[16:17], v[16:17], off
	s_and_saveexec_b32 s1, s0
	s_cbranch_execz .LBB11_28
; %bb.25:                               ;   in Loop: Header=BB11_2 Depth=1
	s_clause 0x2
	global_load_b64 v[20:21], v1, s[8:9] offset:40
	global_load_b64 v[24:25], v1, s[8:9] offset:24 glc
	global_load_b64 v[22:23], v1, s[8:9]
	s_waitcnt vmcnt(2)
	v_add_co_u32 v0, vcc_lo, v20, 1
	v_add_co_ci_u32_e32 v26, vcc_lo, 0, v21, vcc_lo
	s_delay_alu instid0(VALU_DEP_2) | instskip(NEXT) | instid1(VALU_DEP_2)
	v_add_co_u32 v18, vcc_lo, v0, s10
	v_add_co_ci_u32_e32 v19, vcc_lo, s11, v26, vcc_lo
	s_delay_alu instid0(VALU_DEP_1) | instskip(SKIP_1) | instid1(VALU_DEP_1)
	v_cmp_eq_u64_e32 vcc_lo, 0, v[18:19]
	v_dual_cndmask_b32 v19, v19, v26 :: v_dual_cndmask_b32 v18, v18, v0
	v_and_b32_e32 v0, v19, v21
	s_delay_alu instid0(VALU_DEP_2) | instskip(NEXT) | instid1(VALU_DEP_2)
	v_and_b32_e32 v20, v18, v20
	v_mul_lo_u32 v0, v0, 24
	s_delay_alu instid0(VALU_DEP_2) | instskip(SKIP_1) | instid1(VALU_DEP_2)
	v_mul_hi_u32 v21, v20, 24
	v_mul_lo_u32 v20, v20, 24
	v_add_nc_u32_e32 v0, v21, v0
	s_waitcnt vmcnt(1)
	v_mov_b32_e32 v21, v25
	s_waitcnt vmcnt(0)
	s_delay_alu instid0(VALU_DEP_3)
	v_add_co_u32 v22, vcc_lo, v22, v20
	v_mov_b32_e32 v20, v24
	v_add_co_ci_u32_e32 v23, vcc_lo, v23, v0, vcc_lo
	global_store_b64 v[22:23], v[24:25], off
	s_waitcnt_vscnt null, 0x0
	global_atomic_cmpswap_b64 v[20:21], v1, v[18:21], s[8:9] offset:24 glc
	s_waitcnt vmcnt(0)
	v_cmp_ne_u64_e32 vcc_lo, v[20:21], v[24:25]
	s_and_b32 exec_lo, exec_lo, vcc_lo
	s_cbranch_execz .LBB11_28
; %bb.26:                               ;   in Loop: Header=BB11_2 Depth=1
	s_mov_b32 s0, 0
.LBB11_27:                              ;   Parent Loop BB11_2 Depth=1
                                        ; =>  This Inner Loop Header: Depth=2
	s_sleep 1
	global_store_b64 v[22:23], v[20:21], off
	s_waitcnt_vscnt null, 0x0
	global_atomic_cmpswap_b64 v[24:25], v1, v[18:21], s[8:9] offset:24 glc
	s_waitcnt vmcnt(0)
	v_cmp_eq_u64_e32 vcc_lo, v[24:25], v[20:21]
	v_dual_mov_b32 v20, v24 :: v_dual_mov_b32 v21, v25
	s_or_b32 s0, vcc_lo, s0
	s_delay_alu instid0(SALU_CYCLE_1)
	s_and_not1_b32 exec_lo, exec_lo, s0
	s_cbranch_execnz .LBB11_27
.LBB11_28:                              ;   in Loop: Header=BB11_2 Depth=1
	s_or_b32 exec_lo, exec_lo, s1
	s_delay_alu instid0(SALU_CYCLE_1)
	s_and_b32 vcc_lo, exec_lo, s21
	s_cbranch_vccz .LBB11_107
; %bb.29:                               ;   in Loop: Header=BB11_2 Depth=1
	s_waitcnt vmcnt(0)
	v_dual_mov_b32 v19, v17 :: v_dual_and_b32 v44, 2, v16
	v_and_b32_e32 v18, -3, v16
	s_mov_b64 s[10:11], 0x47
	s_getpc_b64 s[12:13]
	s_add_u32 s12, s12, .str.3@rel32@lo+4
	s_addc_u32 s13, s13, .str.3@rel32@hi+12
	s_branch .LBB11_31
.LBB11_30:                              ;   in Loop: Header=BB11_31 Depth=2
	s_or_b32 exec_lo, exec_lo, s1
	s_sub_u32 s10, s10, s14
	s_subb_u32 s11, s11, s15
	s_add_u32 s12, s12, s14
	s_addc_u32 s13, s13, s15
	s_cmp_lg_u64 s[10:11], 0
	s_cbranch_scc0 .LBB11_106
.LBB11_31:                              ;   Parent Loop BB11_2 Depth=1
                                        ; =>  This Loop Header: Depth=2
                                        ;       Child Loop BB11_34 Depth 3
                                        ;       Child Loop BB11_41 Depth 3
	;; [unrolled: 1-line block ×11, first 2 shown]
	v_cmp_lt_u64_e64 s0, s[10:11], 56
	v_cmp_gt_u64_e64 s1, s[10:11], 7
	s_delay_alu instid0(VALU_DEP_2) | instskip(SKIP_2) | instid1(VALU_DEP_1)
	s_and_b32 s0, s0, exec_lo
	s_cselect_b32 s15, s11, 0
	s_cselect_b32 s14, s10, 56
	s_and_b32 vcc_lo, exec_lo, s1
	s_cbranch_vccnz .LBB11_36
; %bb.32:                               ;   in Loop: Header=BB11_31 Depth=2
	s_waitcnt vmcnt(0)
	v_mov_b32_e32 v20, 0
	v_mov_b32_e32 v21, 0
	s_cmp_eq_u64 s[10:11], 0
	s_mov_b64 s[0:1], 0
	s_cbranch_scc1 .LBB11_35
; %bb.33:                               ;   in Loop: Header=BB11_31 Depth=2
	v_mov_b32_e32 v20, 0
	v_mov_b32_e32 v21, 0
	s_lshl_b64 s[16:17], s[14:15], 3
	s_mov_b64 s[18:19], s[12:13]
.LBB11_34:                              ;   Parent Loop BB11_2 Depth=1
                                        ;     Parent Loop BB11_31 Depth=2
                                        ; =>    This Inner Loop Header: Depth=3
	global_load_u8 v0, v1, s[18:19]
	s_waitcnt vmcnt(0)
	v_and_b32_e32 v0, 0xffff, v0
	s_delay_alu instid0(VALU_DEP_1)
	v_lshlrev_b64 v[22:23], s0, v[0:1]
	s_add_u32 s0, s0, 8
	s_addc_u32 s1, s1, 0
	s_add_u32 s18, s18, 1
	s_addc_u32 s19, s19, 0
	s_cmp_lg_u32 s16, s0
	v_or_b32_e32 v20, v22, v20
	v_or_b32_e32 v21, v23, v21
	s_cbranch_scc1 .LBB11_34
.LBB11_35:                              ;   in Loop: Header=BB11_31 Depth=2
	s_mov_b32 s23, 0
	s_mov_b64 s[0:1], s[12:13]
	s_cbranch_execz .LBB11_37
	s_branch .LBB11_38
.LBB11_36:                              ;   in Loop: Header=BB11_31 Depth=2
                                        ; implicit-def: $vgpr20_vgpr21
                                        ; implicit-def: $sgpr23
	s_mov_b64 s[0:1], s[12:13]
.LBB11_37:                              ;   in Loop: Header=BB11_31 Depth=2
	global_load_b64 v[20:21], v1, s[12:13]
	s_add_i32 s23, s14, -8
	s_add_u32 s0, s12, 8
	s_addc_u32 s1, s13, 0
.LBB11_38:                              ;   in Loop: Header=BB11_31 Depth=2
	s_cmp_gt_u32 s23, 7
	s_cbranch_scc1 .LBB11_43
; %bb.39:                               ;   in Loop: Header=BB11_31 Depth=2
	v_mov_b32_e32 v22, 0
	v_mov_b32_e32 v23, 0
	s_cmp_eq_u32 s23, 0
	s_cbranch_scc1 .LBB11_42
; %bb.40:                               ;   in Loop: Header=BB11_31 Depth=2
	s_mov_b64 s[16:17], 0
	s_mov_b64 s[18:19], 0
.LBB11_41:                              ;   Parent Loop BB11_2 Depth=1
                                        ;     Parent Loop BB11_31 Depth=2
                                        ; =>    This Inner Loop Header: Depth=3
	s_delay_alu instid0(SALU_CYCLE_1)
	s_add_u32 s24, s0, s18
	s_addc_u32 s25, s1, s19
	s_add_u32 s18, s18, 1
	global_load_u8 v0, v1, s[24:25]
	s_addc_u32 s19, s19, 0
	s_waitcnt vmcnt(0)
	v_and_b32_e32 v0, 0xffff, v0
	s_delay_alu instid0(VALU_DEP_1) | instskip(SKIP_3) | instid1(VALU_DEP_1)
	v_lshlrev_b64 v[24:25], s16, v[0:1]
	s_add_u32 s16, s16, 8
	s_addc_u32 s17, s17, 0
	s_cmp_lg_u32 s23, s18
	v_or_b32_e32 v22, v24, v22
	s_delay_alu instid0(VALU_DEP_2)
	v_or_b32_e32 v23, v25, v23
	s_cbranch_scc1 .LBB11_41
.LBB11_42:                              ;   in Loop: Header=BB11_31 Depth=2
	s_mov_b32 s24, 0
	s_cbranch_execz .LBB11_44
	s_branch .LBB11_45
.LBB11_43:                              ;   in Loop: Header=BB11_31 Depth=2
                                        ; implicit-def: $vgpr22_vgpr23
                                        ; implicit-def: $sgpr24
.LBB11_44:                              ;   in Loop: Header=BB11_31 Depth=2
	global_load_b64 v[22:23], v1, s[0:1]
	s_add_i32 s24, s23, -8
	s_add_u32 s0, s0, 8
	s_addc_u32 s1, s1, 0
.LBB11_45:                              ;   in Loop: Header=BB11_31 Depth=2
	s_cmp_gt_u32 s24, 7
	s_cbranch_scc1 .LBB11_50
; %bb.46:                               ;   in Loop: Header=BB11_31 Depth=2
	v_mov_b32_e32 v24, 0
	v_mov_b32_e32 v25, 0
	s_cmp_eq_u32 s24, 0
	s_cbranch_scc1 .LBB11_49
; %bb.47:                               ;   in Loop: Header=BB11_31 Depth=2
	s_mov_b64 s[16:17], 0
	s_mov_b64 s[18:19], 0
.LBB11_48:                              ;   Parent Loop BB11_2 Depth=1
                                        ;     Parent Loop BB11_31 Depth=2
                                        ; =>    This Inner Loop Header: Depth=3
	s_delay_alu instid0(SALU_CYCLE_1)
	s_add_u32 s26, s0, s18
	s_addc_u32 s27, s1, s19
	s_add_u32 s18, s18, 1
	global_load_u8 v0, v1, s[26:27]
	s_addc_u32 s19, s19, 0
	s_waitcnt vmcnt(0)
	v_and_b32_e32 v0, 0xffff, v0
	s_delay_alu instid0(VALU_DEP_1) | instskip(SKIP_3) | instid1(VALU_DEP_1)
	v_lshlrev_b64 v[26:27], s16, v[0:1]
	s_add_u32 s16, s16, 8
	s_addc_u32 s17, s17, 0
	s_cmp_lg_u32 s24, s18
	v_or_b32_e32 v24, v26, v24
	s_delay_alu instid0(VALU_DEP_2)
	v_or_b32_e32 v25, v27, v25
	s_cbranch_scc1 .LBB11_48
.LBB11_49:                              ;   in Loop: Header=BB11_31 Depth=2
	s_mov_b32 s23, 0
	s_cbranch_execz .LBB11_51
	s_branch .LBB11_52
.LBB11_50:                              ;   in Loop: Header=BB11_31 Depth=2
                                        ; implicit-def: $sgpr23
.LBB11_51:                              ;   in Loop: Header=BB11_31 Depth=2
	global_load_b64 v[24:25], v1, s[0:1]
	s_add_i32 s23, s24, -8
	s_add_u32 s0, s0, 8
	s_addc_u32 s1, s1, 0
.LBB11_52:                              ;   in Loop: Header=BB11_31 Depth=2
	s_cmp_gt_u32 s23, 7
	s_cbranch_scc1 .LBB11_57
; %bb.53:                               ;   in Loop: Header=BB11_31 Depth=2
	v_mov_b32_e32 v26, 0
	v_mov_b32_e32 v27, 0
	s_cmp_eq_u32 s23, 0
	s_cbranch_scc1 .LBB11_56
; %bb.54:                               ;   in Loop: Header=BB11_31 Depth=2
	s_mov_b64 s[16:17], 0
	s_mov_b64 s[18:19], 0
.LBB11_55:                              ;   Parent Loop BB11_2 Depth=1
                                        ;     Parent Loop BB11_31 Depth=2
                                        ; =>    This Inner Loop Header: Depth=3
	s_delay_alu instid0(SALU_CYCLE_1)
	s_add_u32 s24, s0, s18
	s_addc_u32 s25, s1, s19
	s_add_u32 s18, s18, 1
	global_load_u8 v0, v1, s[24:25]
	s_addc_u32 s19, s19, 0
	s_waitcnt vmcnt(0)
	v_and_b32_e32 v0, 0xffff, v0
	s_delay_alu instid0(VALU_DEP_1) | instskip(SKIP_3) | instid1(VALU_DEP_1)
	v_lshlrev_b64 v[28:29], s16, v[0:1]
	s_add_u32 s16, s16, 8
	s_addc_u32 s17, s17, 0
	s_cmp_lg_u32 s23, s18
	v_or_b32_e32 v26, v28, v26
	s_delay_alu instid0(VALU_DEP_2)
	v_or_b32_e32 v27, v29, v27
	s_cbranch_scc1 .LBB11_55
.LBB11_56:                              ;   in Loop: Header=BB11_31 Depth=2
	s_mov_b32 s24, 0
	s_cbranch_execz .LBB11_58
	s_branch .LBB11_59
.LBB11_57:                              ;   in Loop: Header=BB11_31 Depth=2
                                        ; implicit-def: $vgpr26_vgpr27
                                        ; implicit-def: $sgpr24
.LBB11_58:                              ;   in Loop: Header=BB11_31 Depth=2
	global_load_b64 v[26:27], v1, s[0:1]
	s_add_i32 s24, s23, -8
	s_add_u32 s0, s0, 8
	s_addc_u32 s1, s1, 0
.LBB11_59:                              ;   in Loop: Header=BB11_31 Depth=2
	s_cmp_gt_u32 s24, 7
	s_cbranch_scc1 .LBB11_64
; %bb.60:                               ;   in Loop: Header=BB11_31 Depth=2
	v_mov_b32_e32 v28, 0
	v_mov_b32_e32 v29, 0
	s_cmp_eq_u32 s24, 0
	s_cbranch_scc1 .LBB11_63
; %bb.61:                               ;   in Loop: Header=BB11_31 Depth=2
	s_mov_b64 s[16:17], 0
	s_mov_b64 s[18:19], 0
.LBB11_62:                              ;   Parent Loop BB11_2 Depth=1
                                        ;     Parent Loop BB11_31 Depth=2
                                        ; =>    This Inner Loop Header: Depth=3
	s_delay_alu instid0(SALU_CYCLE_1)
	s_add_u32 s26, s0, s18
	s_addc_u32 s27, s1, s19
	s_add_u32 s18, s18, 1
	global_load_u8 v0, v1, s[26:27]
	s_addc_u32 s19, s19, 0
	s_waitcnt vmcnt(0)
	v_and_b32_e32 v0, 0xffff, v0
	s_delay_alu instid0(VALU_DEP_1) | instskip(SKIP_3) | instid1(VALU_DEP_1)
	v_lshlrev_b64 v[30:31], s16, v[0:1]
	s_add_u32 s16, s16, 8
	s_addc_u32 s17, s17, 0
	s_cmp_lg_u32 s24, s18
	v_or_b32_e32 v28, v30, v28
	s_delay_alu instid0(VALU_DEP_2)
	v_or_b32_e32 v29, v31, v29
	s_cbranch_scc1 .LBB11_62
.LBB11_63:                              ;   in Loop: Header=BB11_31 Depth=2
	s_mov_b32 s23, 0
	s_cbranch_execz .LBB11_65
	s_branch .LBB11_66
.LBB11_64:                              ;   in Loop: Header=BB11_31 Depth=2
                                        ; implicit-def: $sgpr23
.LBB11_65:                              ;   in Loop: Header=BB11_31 Depth=2
	global_load_b64 v[28:29], v1, s[0:1]
	s_add_i32 s23, s24, -8
	s_add_u32 s0, s0, 8
	s_addc_u32 s1, s1, 0
.LBB11_66:                              ;   in Loop: Header=BB11_31 Depth=2
	s_cmp_gt_u32 s23, 7
	s_cbranch_scc1 .LBB11_71
; %bb.67:                               ;   in Loop: Header=BB11_31 Depth=2
	v_mov_b32_e32 v30, 0
	v_mov_b32_e32 v31, 0
	s_cmp_eq_u32 s23, 0
	s_cbranch_scc1 .LBB11_70
; %bb.68:                               ;   in Loop: Header=BB11_31 Depth=2
	s_mov_b64 s[16:17], 0
	s_mov_b64 s[18:19], 0
.LBB11_69:                              ;   Parent Loop BB11_2 Depth=1
                                        ;     Parent Loop BB11_31 Depth=2
                                        ; =>    This Inner Loop Header: Depth=3
	s_delay_alu instid0(SALU_CYCLE_1)
	s_add_u32 s24, s0, s18
	s_addc_u32 s25, s1, s19
	s_add_u32 s18, s18, 1
	global_load_u8 v0, v1, s[24:25]
	s_addc_u32 s19, s19, 0
	s_waitcnt vmcnt(0)
	v_and_b32_e32 v0, 0xffff, v0
	s_delay_alu instid0(VALU_DEP_1) | instskip(SKIP_3) | instid1(VALU_DEP_1)
	v_lshlrev_b64 v[32:33], s16, v[0:1]
	s_add_u32 s16, s16, 8
	s_addc_u32 s17, s17, 0
	s_cmp_lg_u32 s23, s18
	v_or_b32_e32 v30, v32, v30
	s_delay_alu instid0(VALU_DEP_2)
	v_or_b32_e32 v31, v33, v31
	s_cbranch_scc1 .LBB11_69
.LBB11_70:                              ;   in Loop: Header=BB11_31 Depth=2
	s_mov_b32 s24, 0
	s_cbranch_execz .LBB11_72
	s_branch .LBB11_73
.LBB11_71:                              ;   in Loop: Header=BB11_31 Depth=2
                                        ; implicit-def: $vgpr30_vgpr31
                                        ; implicit-def: $sgpr24
.LBB11_72:                              ;   in Loop: Header=BB11_31 Depth=2
	global_load_b64 v[30:31], v1, s[0:1]
	s_add_i32 s24, s23, -8
	s_add_u32 s0, s0, 8
	s_addc_u32 s1, s1, 0
.LBB11_73:                              ;   in Loop: Header=BB11_31 Depth=2
	s_cmp_gt_u32 s24, 7
	s_cbranch_scc1 .LBB11_78
; %bb.74:                               ;   in Loop: Header=BB11_31 Depth=2
	v_mov_b32_e32 v32, 0
	v_mov_b32_e32 v33, 0
	s_cmp_eq_u32 s24, 0
	s_cbranch_scc1 .LBB11_77
; %bb.75:                               ;   in Loop: Header=BB11_31 Depth=2
	s_mov_b64 s[16:17], 0
	s_mov_b64 s[18:19], s[0:1]
.LBB11_76:                              ;   Parent Loop BB11_2 Depth=1
                                        ;     Parent Loop BB11_31 Depth=2
                                        ; =>    This Inner Loop Header: Depth=3
	global_load_u8 v0, v1, s[18:19]
	s_add_i32 s24, s24, -1
	s_waitcnt vmcnt(0)
	v_and_b32_e32 v0, 0xffff, v0
	s_delay_alu instid0(VALU_DEP_1)
	v_lshlrev_b64 v[34:35], s16, v[0:1]
	s_add_u32 s16, s16, 8
	s_addc_u32 s17, s17, 0
	s_add_u32 s18, s18, 1
	s_addc_u32 s19, s19, 0
	s_cmp_lg_u32 s24, 0
	v_or_b32_e32 v32, v34, v32
	v_or_b32_e32 v33, v35, v33
	s_cbranch_scc1 .LBB11_76
.LBB11_77:                              ;   in Loop: Header=BB11_31 Depth=2
	s_cbranch_execz .LBB11_79
	s_branch .LBB11_80
.LBB11_78:                              ;   in Loop: Header=BB11_31 Depth=2
.LBB11_79:                              ;   in Loop: Header=BB11_31 Depth=2
	global_load_b64 v[32:33], v1, s[0:1]
.LBB11_80:                              ;   in Loop: Header=BB11_31 Depth=2
	v_readfirstlane_b32 s0, v40
	v_mov_b32_e32 v38, 0
	v_mov_b32_e32 v39, 0
	s_delay_alu instid0(VALU_DEP_3) | instskip(NEXT) | instid1(VALU_DEP_1)
	v_cmp_eq_u32_e64 s0, s0, v40
	s_and_saveexec_b32 s1, s0
	s_cbranch_execz .LBB11_86
; %bb.81:                               ;   in Loop: Header=BB11_31 Depth=2
	global_load_b64 v[36:37], v1, s[8:9] offset:24 glc
	s_waitcnt vmcnt(0)
	buffer_gl1_inv
	buffer_gl0_inv
	s_clause 0x1
	global_load_b64 v[34:35], v1, s[8:9] offset:40
	global_load_b64 v[38:39], v1, s[8:9]
	s_mov_b32 s16, exec_lo
	s_waitcnt vmcnt(1)
	v_and_b32_e32 v0, v35, v37
	v_and_b32_e32 v34, v34, v36
	s_delay_alu instid0(VALU_DEP_2) | instskip(NEXT) | instid1(VALU_DEP_2)
	v_mul_lo_u32 v0, v0, 24
	v_mul_hi_u32 v35, v34, 24
	v_mul_lo_u32 v34, v34, 24
	s_delay_alu instid0(VALU_DEP_2) | instskip(SKIP_1) | instid1(VALU_DEP_2)
	v_add_nc_u32_e32 v0, v35, v0
	s_waitcnt vmcnt(0)
	v_add_co_u32 v34, vcc_lo, v38, v34
	s_delay_alu instid0(VALU_DEP_2)
	v_add_co_ci_u32_e32 v35, vcc_lo, v39, v0, vcc_lo
	global_load_b64 v[34:35], v[34:35], off glc
	s_waitcnt vmcnt(0)
	global_atomic_cmpswap_b64 v[38:39], v1, v[34:37], s[8:9] offset:24 glc
	s_waitcnt vmcnt(0)
	buffer_gl1_inv
	buffer_gl0_inv
	v_cmpx_ne_u64_e64 v[38:39], v[36:37]
	s_cbranch_execz .LBB11_85
; %bb.82:                               ;   in Loop: Header=BB11_31 Depth=2
	s_mov_b32 s17, 0
	.p2align	6
.LBB11_83:                              ;   Parent Loop BB11_2 Depth=1
                                        ;     Parent Loop BB11_31 Depth=2
                                        ; =>    This Inner Loop Header: Depth=3
	s_sleep 1
	s_clause 0x1
	global_load_b64 v[34:35], v1, s[8:9] offset:40
	global_load_b64 v[45:46], v1, s[8:9]
	v_dual_mov_b32 v36, v38 :: v_dual_mov_b32 v37, v39
	s_waitcnt vmcnt(1)
	s_delay_alu instid0(VALU_DEP_1) | instskip(SKIP_1) | instid1(VALU_DEP_1)
	v_and_b32_e32 v0, v34, v36
	s_waitcnt vmcnt(0)
	v_mad_u64_u32 v[38:39], null, v0, 24, v[45:46]
	v_and_b32_e32 v45, v35, v37
	s_delay_alu instid0(VALU_DEP_2) | instskip(NEXT) | instid1(VALU_DEP_1)
	v_mov_b32_e32 v0, v39
	v_mad_u64_u32 v[34:35], null, v45, 24, v[0:1]
	s_delay_alu instid0(VALU_DEP_1)
	v_mov_b32_e32 v39, v34
	global_load_b64 v[34:35], v[38:39], off glc
	s_waitcnt vmcnt(0)
	global_atomic_cmpswap_b64 v[38:39], v1, v[34:37], s[8:9] offset:24 glc
	s_waitcnt vmcnt(0)
	buffer_gl1_inv
	buffer_gl0_inv
	v_cmp_eq_u64_e32 vcc_lo, v[38:39], v[36:37]
	s_or_b32 s17, vcc_lo, s17
	s_delay_alu instid0(SALU_CYCLE_1)
	s_and_not1_b32 exec_lo, exec_lo, s17
	s_cbranch_execnz .LBB11_83
; %bb.84:                               ;   in Loop: Header=BB11_31 Depth=2
	s_or_b32 exec_lo, exec_lo, s17
.LBB11_85:                              ;   in Loop: Header=BB11_31 Depth=2
	s_delay_alu instid0(SALU_CYCLE_1)
	s_or_b32 exec_lo, exec_lo, s16
.LBB11_86:                              ;   in Loop: Header=BB11_31 Depth=2
	s_delay_alu instid0(SALU_CYCLE_1)
	s_or_b32 exec_lo, exec_lo, s1
	s_clause 0x1
	global_load_b64 v[45:46], v1, s[8:9] offset:40
	global_load_b128 v[34:37], v1, s[8:9]
	v_readfirstlane_b32 s16, v38
	v_readfirstlane_b32 s17, v39
	s_mov_b32 s1, exec_lo
	s_waitcnt vmcnt(1)
	v_readfirstlane_b32 s18, v45
	v_readfirstlane_b32 s19, v46
	s_delay_alu instid0(VALU_DEP_1) | instskip(NEXT) | instid1(SALU_CYCLE_1)
	s_and_b64 s[18:19], s[16:17], s[18:19]
	s_mul_i32 s23, s19, 24
	s_mul_hi_u32 s24, s18, 24
	s_mul_i32 s25, s18, 24
	s_add_i32 s24, s24, s23
	s_waitcnt vmcnt(0)
	v_add_co_u32 v38, vcc_lo, v34, s25
	v_add_co_ci_u32_e32 v39, vcc_lo, s24, v35, vcc_lo
	s_and_saveexec_b32 s23, s0
	s_cbranch_execz .LBB11_88
; %bb.87:                               ;   in Loop: Header=BB11_31 Depth=2
	v_mov_b32_e32 v0, s1
	global_store_b128 v[38:39], v[0:3], off offset:8
.LBB11_88:                              ;   in Loop: Header=BB11_31 Depth=2
	s_or_b32 exec_lo, exec_lo, s23
	s_lshl_b64 s[18:19], s[18:19], 12
	v_cmp_gt_u64_e64 vcc_lo, s[10:11], 56
	v_or_b32_e32 v0, 0, v19
	v_or_b32_e32 v45, v18, v44
	v_add_co_u32 v36, s1, v36, s18
	s_delay_alu instid0(VALU_DEP_1) | instskip(SKIP_1) | instid1(VALU_DEP_3)
	v_add_co_ci_u32_e64 v37, s1, s19, v37, s1
	s_lshl_b32 s1, s14, 2
	v_dual_cndmask_b32 v19, v0, v19 :: v_dual_cndmask_b32 v0, v45, v18
	s_add_i32 s1, s1, 28
	v_readfirstlane_b32 s18, v36
	s_and_b32 s1, s1, 0x1e0
	v_readfirstlane_b32 s19, v37
	v_and_or_b32 v18, 0xffffff1f, v0, s1
	s_clause 0x3
	global_store_b128 v41, v[18:21], s[18:19]
	global_store_b128 v41, v[22:25], s[18:19] offset:16
	global_store_b128 v41, v[26:29], s[18:19] offset:32
	global_store_b128 v41, v[30:33], s[18:19] offset:48
	s_and_saveexec_b32 s1, s0
	s_cbranch_execz .LBB11_96
; %bb.89:                               ;   in Loop: Header=BB11_31 Depth=2
	s_clause 0x1
	global_load_b64 v[26:27], v1, s[8:9] offset:32 glc
	global_load_b64 v[18:19], v1, s[8:9] offset:40
	v_dual_mov_b32 v24, s16 :: v_dual_mov_b32 v25, s17
	s_waitcnt vmcnt(0)
	v_readfirstlane_b32 s18, v18
	v_readfirstlane_b32 s19, v19
	s_delay_alu instid0(VALU_DEP_1) | instskip(NEXT) | instid1(SALU_CYCLE_1)
	s_and_b64 s[18:19], s[18:19], s[16:17]
	s_mul_i32 s19, s19, 24
	s_mul_hi_u32 s23, s18, 24
	s_mul_i32 s18, s18, 24
	s_add_i32 s23, s23, s19
	v_add_co_u32 v22, vcc_lo, v34, s18
	v_add_co_ci_u32_e32 v23, vcc_lo, s23, v35, vcc_lo
	s_mov_b32 s18, exec_lo
	global_store_b64 v[22:23], v[26:27], off
	s_waitcnt_vscnt null, 0x0
	global_atomic_cmpswap_b64 v[20:21], v1, v[24:27], s[8:9] offset:32 glc
	s_waitcnt vmcnt(0)
	v_cmpx_ne_u64_e64 v[20:21], v[26:27]
	s_cbranch_execz .LBB11_92
; %bb.90:                               ;   in Loop: Header=BB11_31 Depth=2
	s_mov_b32 s19, 0
.LBB11_91:                              ;   Parent Loop BB11_2 Depth=1
                                        ;     Parent Loop BB11_31 Depth=2
                                        ; =>    This Inner Loop Header: Depth=3
	v_dual_mov_b32 v18, s16 :: v_dual_mov_b32 v19, s17
	s_sleep 1
	global_store_b64 v[22:23], v[20:21], off
	s_waitcnt_vscnt null, 0x0
	global_atomic_cmpswap_b64 v[18:19], v1, v[18:21], s[8:9] offset:32 glc
	s_waitcnt vmcnt(0)
	v_cmp_eq_u64_e32 vcc_lo, v[18:19], v[20:21]
	v_dual_mov_b32 v21, v19 :: v_dual_mov_b32 v20, v18
	s_or_b32 s19, vcc_lo, s19
	s_delay_alu instid0(SALU_CYCLE_1)
	s_and_not1_b32 exec_lo, exec_lo, s19
	s_cbranch_execnz .LBB11_91
.LBB11_92:                              ;   in Loop: Header=BB11_31 Depth=2
	s_or_b32 exec_lo, exec_lo, s18
	global_load_b64 v[18:19], v1, s[8:9] offset:16
	s_mov_b32 s19, exec_lo
	s_mov_b32 s18, exec_lo
	v_mbcnt_lo_u32_b32 v0, s19, 0
	s_delay_alu instid0(VALU_DEP_1)
	v_cmpx_eq_u32_e32 0, v0
	s_cbranch_execz .LBB11_94
; %bb.93:                               ;   in Loop: Header=BB11_31 Depth=2
	s_bcnt1_i32_b32 s19, s19
	s_delay_alu instid0(SALU_CYCLE_1)
	v_mov_b32_e32 v0, s19
	s_waitcnt vmcnt(0)
	global_atomic_add_u64 v[18:19], v[0:1], off offset:8
.LBB11_94:                              ;   in Loop: Header=BB11_31 Depth=2
	s_or_b32 exec_lo, exec_lo, s18
	s_waitcnt vmcnt(0)
	global_load_b64 v[20:21], v[18:19], off offset:16
	s_waitcnt vmcnt(0)
	v_cmp_eq_u64_e32 vcc_lo, 0, v[20:21]
	s_cbranch_vccnz .LBB11_96
; %bb.95:                               ;   in Loop: Header=BB11_31 Depth=2
	global_load_b32 v0, v[18:19], off offset:24
	s_waitcnt vmcnt(0)
	v_and_b32_e32 v18, 0xffffff, v0
	s_waitcnt_vscnt null, 0x0
	global_store_b64 v[20:21], v[0:1], off
	v_readfirstlane_b32 m0, v18
	s_sendmsg sendmsg(MSG_INTERRUPT)
.LBB11_96:                              ;   in Loop: Header=BB11_31 Depth=2
	s_or_b32 exec_lo, exec_lo, s1
	v_add_co_u32 v18, vcc_lo, v36, v41
	v_add_co_ci_u32_e32 v19, vcc_lo, 0, v37, vcc_lo
	s_branch .LBB11_100
	.p2align	6
.LBB11_97:                              ;   in Loop: Header=BB11_100 Depth=3
	s_or_b32 exec_lo, exec_lo, s1
	s_delay_alu instid0(VALU_DEP_1) | instskip(NEXT) | instid1(VALU_DEP_1)
	v_readfirstlane_b32 s1, v0
	s_cmp_eq_u32 s1, 0
	s_cbranch_scc1 .LBB11_99
; %bb.98:                               ;   in Loop: Header=BB11_100 Depth=3
	s_sleep 1
	s_cbranch_execnz .LBB11_100
	s_branch .LBB11_102
	.p2align	6
.LBB11_99:                              ;   in Loop: Header=BB11_31 Depth=2
	s_branch .LBB11_102
.LBB11_100:                             ;   Parent Loop BB11_2 Depth=1
                                        ;     Parent Loop BB11_31 Depth=2
                                        ; =>    This Inner Loop Header: Depth=3
	v_mov_b32_e32 v0, 1
	s_and_saveexec_b32 s1, s0
	s_cbranch_execz .LBB11_97
; %bb.101:                              ;   in Loop: Header=BB11_100 Depth=3
	global_load_b32 v0, v[38:39], off offset:20 glc
	s_waitcnt vmcnt(0)
	buffer_gl1_inv
	buffer_gl0_inv
	v_and_b32_e32 v0, 1, v0
	s_branch .LBB11_97
.LBB11_102:                             ;   in Loop: Header=BB11_31 Depth=2
	global_load_b128 v[18:21], v[18:19], off
	s_and_saveexec_b32 s1, s0
	s_cbranch_execz .LBB11_30
; %bb.103:                              ;   in Loop: Header=BB11_31 Depth=2
	s_clause 0x2
	global_load_b64 v[22:23], v1, s[8:9] offset:40
	global_load_b64 v[26:27], v1, s[8:9] offset:24 glc
	global_load_b64 v[24:25], v1, s[8:9]
	s_waitcnt vmcnt(2)
	v_add_co_u32 v0, vcc_lo, v22, 1
	v_add_co_ci_u32_e32 v28, vcc_lo, 0, v23, vcc_lo
	s_delay_alu instid0(VALU_DEP_2) | instskip(NEXT) | instid1(VALU_DEP_2)
	v_add_co_u32 v20, vcc_lo, v0, s16
	v_add_co_ci_u32_e32 v21, vcc_lo, s17, v28, vcc_lo
	s_delay_alu instid0(VALU_DEP_1) | instskip(SKIP_1) | instid1(VALU_DEP_1)
	v_cmp_eq_u64_e32 vcc_lo, 0, v[20:21]
	v_cndmask_b32_e32 v20, v20, v0, vcc_lo
	v_dual_cndmask_b32 v21, v21, v28 :: v_dual_and_b32 v22, v20, v22
	s_delay_alu instid0(VALU_DEP_1) | instskip(NEXT) | instid1(VALU_DEP_2)
	v_and_b32_e32 v0, v21, v23
	v_mul_hi_u32 v23, v22, 24
	s_delay_alu instid0(VALU_DEP_2) | instskip(SKIP_1) | instid1(VALU_DEP_2)
	v_mul_lo_u32 v0, v0, 24
	v_mul_lo_u32 v22, v22, 24
	v_add_nc_u32_e32 v0, v23, v0
	s_waitcnt vmcnt(0)
	s_delay_alu instid0(VALU_DEP_2) | instskip(SKIP_1) | instid1(VALU_DEP_3)
	v_add_co_u32 v24, vcc_lo, v24, v22
	v_dual_mov_b32 v22, v26 :: v_dual_mov_b32 v23, v27
	v_add_co_ci_u32_e32 v25, vcc_lo, v25, v0, vcc_lo
	global_store_b64 v[24:25], v[26:27], off
	s_waitcnt_vscnt null, 0x0
	global_atomic_cmpswap_b64 v[22:23], v1, v[20:23], s[8:9] offset:24 glc
	s_waitcnt vmcnt(0)
	v_cmp_ne_u64_e32 vcc_lo, v[22:23], v[26:27]
	s_and_b32 exec_lo, exec_lo, vcc_lo
	s_cbranch_execz .LBB11_30
; %bb.104:                              ;   in Loop: Header=BB11_31 Depth=2
	s_mov_b32 s0, 0
.LBB11_105:                             ;   Parent Loop BB11_2 Depth=1
                                        ;     Parent Loop BB11_31 Depth=2
                                        ; =>    This Inner Loop Header: Depth=3
	s_sleep 1
	global_store_b64 v[24:25], v[22:23], off
	s_waitcnt_vscnt null, 0x0
	global_atomic_cmpswap_b64 v[26:27], v1, v[20:23], s[8:9] offset:24 glc
	s_waitcnt vmcnt(0)
	v_cmp_eq_u64_e32 vcc_lo, v[26:27], v[22:23]
	v_dual_mov_b32 v22, v26 :: v_dual_mov_b32 v23, v27
	s_or_b32 s0, vcc_lo, s0
	s_delay_alu instid0(SALU_CYCLE_1)
	s_and_not1_b32 exec_lo, exec_lo, s0
	s_cbranch_execnz .LBB11_105
	s_branch .LBB11_30
.LBB11_106:                             ;   in Loop: Header=BB11_2 Depth=1
	s_branch .LBB11_135
.LBB11_107:                             ;   in Loop: Header=BB11_2 Depth=1
                                        ; implicit-def: $vgpr18_vgpr19
	s_cbranch_execz .LBB11_135
; %bb.108:                              ;   in Loop: Header=BB11_2 Depth=1
	v_readfirstlane_b32 s0, v40
	s_waitcnt vmcnt(0)
	v_mov_b32_e32 v18, 0
	v_mov_b32_e32 v19, 0
	s_delay_alu instid0(VALU_DEP_3) | instskip(NEXT) | instid1(VALU_DEP_1)
	v_cmp_eq_u32_e64 s0, s0, v40
	s_and_saveexec_b32 s1, s0
	s_cbranch_execz .LBB11_114
; %bb.109:                              ;   in Loop: Header=BB11_2 Depth=1
	global_load_b64 v[20:21], v1, s[8:9] offset:24 glc
	s_waitcnt vmcnt(0)
	buffer_gl1_inv
	buffer_gl0_inv
	s_clause 0x1
	global_load_b64 v[18:19], v1, s[8:9] offset:40
	global_load_b64 v[22:23], v1, s[8:9]
	s_mov_b32 s10, exec_lo
	s_waitcnt vmcnt(1)
	v_and_b32_e32 v0, v19, v21
	v_and_b32_e32 v18, v18, v20
	s_delay_alu instid0(VALU_DEP_2) | instskip(NEXT) | instid1(VALU_DEP_2)
	v_mul_lo_u32 v0, v0, 24
	v_mul_hi_u32 v19, v18, 24
	v_mul_lo_u32 v18, v18, 24
	s_delay_alu instid0(VALU_DEP_2) | instskip(SKIP_1) | instid1(VALU_DEP_2)
	v_add_nc_u32_e32 v0, v19, v0
	s_waitcnt vmcnt(0)
	v_add_co_u32 v18, vcc_lo, v22, v18
	s_delay_alu instid0(VALU_DEP_2)
	v_add_co_ci_u32_e32 v19, vcc_lo, v23, v0, vcc_lo
	global_load_b64 v[18:19], v[18:19], off glc
	s_waitcnt vmcnt(0)
	global_atomic_cmpswap_b64 v[18:19], v1, v[18:21], s[8:9] offset:24 glc
	s_waitcnt vmcnt(0)
	buffer_gl1_inv
	buffer_gl0_inv
	v_cmpx_ne_u64_e64 v[18:19], v[20:21]
	s_cbranch_execz .LBB11_113
; %bb.110:                              ;   in Loop: Header=BB11_2 Depth=1
	s_mov_b32 s11, 0
	.p2align	6
.LBB11_111:                             ;   Parent Loop BB11_2 Depth=1
                                        ; =>  This Inner Loop Header: Depth=2
	s_sleep 1
	s_clause 0x1
	global_load_b64 v[22:23], v1, s[8:9] offset:40
	global_load_b64 v[24:25], v1, s[8:9]
	v_dual_mov_b32 v21, v19 :: v_dual_mov_b32 v20, v18
	s_waitcnt vmcnt(1)
	s_delay_alu instid0(VALU_DEP_1) | instskip(SKIP_1) | instid1(VALU_DEP_1)
	v_and_b32_e32 v0, v22, v20
	s_waitcnt vmcnt(0)
	v_mad_u64_u32 v[18:19], null, v0, 24, v[24:25]
	v_and_b32_e32 v24, v23, v21
	s_delay_alu instid0(VALU_DEP_2) | instskip(NEXT) | instid1(VALU_DEP_1)
	v_mov_b32_e32 v0, v19
	v_mad_u64_u32 v[22:23], null, v24, 24, v[0:1]
	s_delay_alu instid0(VALU_DEP_1)
	v_mov_b32_e32 v19, v22
	global_load_b64 v[18:19], v[18:19], off glc
	s_waitcnt vmcnt(0)
	global_atomic_cmpswap_b64 v[18:19], v1, v[18:21], s[8:9] offset:24 glc
	s_waitcnt vmcnt(0)
	buffer_gl1_inv
	buffer_gl0_inv
	v_cmp_eq_u64_e32 vcc_lo, v[18:19], v[20:21]
	s_or_b32 s11, vcc_lo, s11
	s_delay_alu instid0(SALU_CYCLE_1)
	s_and_not1_b32 exec_lo, exec_lo, s11
	s_cbranch_execnz .LBB11_111
; %bb.112:                              ;   in Loop: Header=BB11_2 Depth=1
	s_or_b32 exec_lo, exec_lo, s11
.LBB11_113:                             ;   in Loop: Header=BB11_2 Depth=1
	s_delay_alu instid0(SALU_CYCLE_1)
	s_or_b32 exec_lo, exec_lo, s10
.LBB11_114:                             ;   in Loop: Header=BB11_2 Depth=1
	s_delay_alu instid0(SALU_CYCLE_1)
	s_or_b32 exec_lo, exec_lo, s1
	s_clause 0x1
	global_load_b64 v[24:25], v1, s[8:9] offset:40
	global_load_b128 v[20:23], v1, s[8:9]
	v_readfirstlane_b32 s10, v18
	v_readfirstlane_b32 s11, v19
	s_mov_b32 s1, exec_lo
	s_waitcnt vmcnt(1)
	v_readfirstlane_b32 s12, v24
	v_readfirstlane_b32 s13, v25
	s_delay_alu instid0(VALU_DEP_1) | instskip(NEXT) | instid1(SALU_CYCLE_1)
	s_and_b64 s[12:13], s[10:11], s[12:13]
	s_mul_i32 s14, s13, 24
	s_mul_hi_u32 s15, s12, 24
	s_mul_i32 s16, s12, 24
	s_add_i32 s15, s15, s14
	s_waitcnt vmcnt(0)
	v_add_co_u32 v24, vcc_lo, v20, s16
	v_add_co_ci_u32_e32 v25, vcc_lo, s15, v21, vcc_lo
	s_and_saveexec_b32 s14, s0
	s_cbranch_execz .LBB11_116
; %bb.115:                              ;   in Loop: Header=BB11_2 Depth=1
	v_mov_b32_e32 v0, s1
	global_store_b128 v[24:25], v[0:3], off offset:8
.LBB11_116:                             ;   in Loop: Header=BB11_2 Depth=1
	s_or_b32 exec_lo, exec_lo, s14
	s_lshl_b64 s[12:13], s[12:13], 12
	v_and_or_b32 v16, 0xffffff1f, v16, 32
	v_add_co_u32 v22, vcc_lo, v22, s12
	v_add_co_ci_u32_e32 v23, vcc_lo, s13, v23, vcc_lo
	v_dual_mov_b32 v18, v1 :: v_dual_mov_b32 v29, s7
	v_dual_mov_b32 v19, v1 :: v_dual_mov_b32 v28, s6
	s_delay_alu instid0(VALU_DEP_4) | instskip(NEXT) | instid1(VALU_DEP_4)
	v_readfirstlane_b32 s12, v22
	v_readfirstlane_b32 s13, v23
	v_dual_mov_b32 v27, s5 :: v_dual_mov_b32 v26, s4
	s_clause 0x3
	global_store_b128 v41, v[16:19], s[12:13]
	global_store_b128 v41, v[26:29], s[12:13] offset:16
	global_store_b128 v41, v[26:29], s[12:13] offset:32
	;; [unrolled: 1-line block ×3, first 2 shown]
	s_and_saveexec_b32 s1, s0
	s_cbranch_execz .LBB11_124
; %bb.117:                              ;   in Loop: Header=BB11_2 Depth=1
	s_clause 0x1
	global_load_b64 v[28:29], v1, s[8:9] offset:32 glc
	global_load_b64 v[16:17], v1, s[8:9] offset:40
	v_dual_mov_b32 v26, s10 :: v_dual_mov_b32 v27, s11
	s_waitcnt vmcnt(0)
	v_readfirstlane_b32 s12, v16
	v_readfirstlane_b32 s13, v17
	s_delay_alu instid0(VALU_DEP_1) | instskip(NEXT) | instid1(SALU_CYCLE_1)
	s_and_b64 s[12:13], s[12:13], s[10:11]
	s_mul_i32 s13, s13, 24
	s_mul_hi_u32 s14, s12, 24
	s_mul_i32 s12, s12, 24
	s_add_i32 s14, s14, s13
	v_add_co_u32 v20, vcc_lo, v20, s12
	v_add_co_ci_u32_e32 v21, vcc_lo, s14, v21, vcc_lo
	s_mov_b32 s12, exec_lo
	global_store_b64 v[20:21], v[28:29], off
	s_waitcnt_vscnt null, 0x0
	global_atomic_cmpswap_b64 v[18:19], v1, v[26:29], s[8:9] offset:32 glc
	s_waitcnt vmcnt(0)
	v_cmpx_ne_u64_e64 v[18:19], v[28:29]
	s_cbranch_execz .LBB11_120
; %bb.118:                              ;   in Loop: Header=BB11_2 Depth=1
	s_mov_b32 s13, 0
.LBB11_119:                             ;   Parent Loop BB11_2 Depth=1
                                        ; =>  This Inner Loop Header: Depth=2
	v_dual_mov_b32 v16, s10 :: v_dual_mov_b32 v17, s11
	s_sleep 1
	global_store_b64 v[20:21], v[18:19], off
	s_waitcnt_vscnt null, 0x0
	global_atomic_cmpswap_b64 v[16:17], v1, v[16:19], s[8:9] offset:32 glc
	s_waitcnt vmcnt(0)
	v_cmp_eq_u64_e32 vcc_lo, v[16:17], v[18:19]
	v_dual_mov_b32 v19, v17 :: v_dual_mov_b32 v18, v16
	s_or_b32 s13, vcc_lo, s13
	s_delay_alu instid0(SALU_CYCLE_1)
	s_and_not1_b32 exec_lo, exec_lo, s13
	s_cbranch_execnz .LBB11_119
.LBB11_120:                             ;   in Loop: Header=BB11_2 Depth=1
	s_or_b32 exec_lo, exec_lo, s12
	global_load_b64 v[16:17], v1, s[8:9] offset:16
	s_mov_b32 s13, exec_lo
	s_mov_b32 s12, exec_lo
	v_mbcnt_lo_u32_b32 v0, s13, 0
	s_delay_alu instid0(VALU_DEP_1)
	v_cmpx_eq_u32_e32 0, v0
	s_cbranch_execz .LBB11_122
; %bb.121:                              ;   in Loop: Header=BB11_2 Depth=1
	s_bcnt1_i32_b32 s13, s13
	s_delay_alu instid0(SALU_CYCLE_1)
	v_mov_b32_e32 v0, s13
	s_waitcnt vmcnt(0)
	global_atomic_add_u64 v[16:17], v[0:1], off offset:8
.LBB11_122:                             ;   in Loop: Header=BB11_2 Depth=1
	s_or_b32 exec_lo, exec_lo, s12
	s_waitcnt vmcnt(0)
	global_load_b64 v[18:19], v[16:17], off offset:16
	s_waitcnt vmcnt(0)
	v_cmp_eq_u64_e32 vcc_lo, 0, v[18:19]
	s_cbranch_vccnz .LBB11_124
; %bb.123:                              ;   in Loop: Header=BB11_2 Depth=1
	global_load_b32 v0, v[16:17], off offset:24
	s_waitcnt vmcnt(0)
	v_and_b32_e32 v16, 0xffffff, v0
	s_waitcnt_vscnt null, 0x0
	global_store_b64 v[18:19], v[0:1], off
	v_readfirstlane_b32 m0, v16
	s_sendmsg sendmsg(MSG_INTERRUPT)
.LBB11_124:                             ;   in Loop: Header=BB11_2 Depth=1
	s_or_b32 exec_lo, exec_lo, s1
	v_add_co_u32 v16, vcc_lo, v22, v41
	v_add_co_ci_u32_e32 v17, vcc_lo, 0, v23, vcc_lo
	s_branch .LBB11_128
	.p2align	6
.LBB11_125:                             ;   in Loop: Header=BB11_128 Depth=2
	s_or_b32 exec_lo, exec_lo, s1
	s_delay_alu instid0(VALU_DEP_1) | instskip(NEXT) | instid1(VALU_DEP_1)
	v_readfirstlane_b32 s1, v0
	s_cmp_eq_u32 s1, 0
	s_cbranch_scc1 .LBB11_127
; %bb.126:                              ;   in Loop: Header=BB11_128 Depth=2
	s_sleep 1
	s_cbranch_execnz .LBB11_128
	s_branch .LBB11_130
	.p2align	6
.LBB11_127:                             ;   in Loop: Header=BB11_2 Depth=1
	s_branch .LBB11_130
.LBB11_128:                             ;   Parent Loop BB11_2 Depth=1
                                        ; =>  This Inner Loop Header: Depth=2
	v_mov_b32_e32 v0, 1
	s_and_saveexec_b32 s1, s0
	s_cbranch_execz .LBB11_125
; %bb.129:                              ;   in Loop: Header=BB11_128 Depth=2
	global_load_b32 v0, v[24:25], off offset:20 glc
	s_waitcnt vmcnt(0)
	buffer_gl1_inv
	buffer_gl0_inv
	v_and_b32_e32 v0, 1, v0
	s_branch .LBB11_125
.LBB11_130:                             ;   in Loop: Header=BB11_2 Depth=1
	global_load_b64 v[18:19], v[16:17], off
	s_and_saveexec_b32 s1, s0
	s_cbranch_execz .LBB11_134
; %bb.131:                              ;   in Loop: Header=BB11_2 Depth=1
	s_clause 0x2
	global_load_b64 v[16:17], v1, s[8:9] offset:40
	global_load_b64 v[24:25], v1, s[8:9] offset:24 glc
	global_load_b64 v[22:23], v1, s[8:9]
	s_waitcnt vmcnt(2)
	v_add_co_u32 v0, vcc_lo, v16, 1
	v_add_co_ci_u32_e32 v26, vcc_lo, 0, v17, vcc_lo
	s_delay_alu instid0(VALU_DEP_2) | instskip(NEXT) | instid1(VALU_DEP_2)
	v_add_co_u32 v20, vcc_lo, v0, s10
	v_add_co_ci_u32_e32 v21, vcc_lo, s11, v26, vcc_lo
	s_delay_alu instid0(VALU_DEP_1) | instskip(SKIP_1) | instid1(VALU_DEP_1)
	v_cmp_eq_u64_e32 vcc_lo, 0, v[20:21]
	v_dual_cndmask_b32 v21, v21, v26 :: v_dual_cndmask_b32 v20, v20, v0
	v_and_b32_e32 v0, v21, v17
	s_delay_alu instid0(VALU_DEP_2) | instskip(NEXT) | instid1(VALU_DEP_2)
	v_and_b32_e32 v16, v20, v16
	v_mul_lo_u32 v0, v0, 24
	s_delay_alu instid0(VALU_DEP_2) | instskip(SKIP_1) | instid1(VALU_DEP_2)
	v_mul_hi_u32 v17, v16, 24
	v_mul_lo_u32 v16, v16, 24
	v_add_nc_u32_e32 v0, v17, v0
	s_waitcnt vmcnt(0)
	s_delay_alu instid0(VALU_DEP_2) | instskip(SKIP_1) | instid1(VALU_DEP_3)
	v_add_co_u32 v16, vcc_lo, v22, v16
	v_mov_b32_e32 v22, v24
	v_add_co_ci_u32_e32 v17, vcc_lo, v23, v0, vcc_lo
	v_mov_b32_e32 v23, v25
	global_store_b64 v[16:17], v[24:25], off
	s_waitcnt_vscnt null, 0x0
	global_atomic_cmpswap_b64 v[22:23], v1, v[20:23], s[8:9] offset:24 glc
	s_waitcnt vmcnt(0)
	v_cmp_ne_u64_e32 vcc_lo, v[22:23], v[24:25]
	s_and_b32 exec_lo, exec_lo, vcc_lo
	s_cbranch_execz .LBB11_134
; %bb.132:                              ;   in Loop: Header=BB11_2 Depth=1
	s_mov_b32 s0, 0
.LBB11_133:                             ;   Parent Loop BB11_2 Depth=1
                                        ; =>  This Inner Loop Header: Depth=2
	s_sleep 1
	global_store_b64 v[16:17], v[22:23], off
	s_waitcnt_vscnt null, 0x0
	global_atomic_cmpswap_b64 v[24:25], v1, v[20:23], s[8:9] offset:24 glc
	s_waitcnt vmcnt(0)
	v_cmp_eq_u64_e32 vcc_lo, v[24:25], v[22:23]
	v_dual_mov_b32 v22, v24 :: v_dual_mov_b32 v23, v25
	s_or_b32 s0, vcc_lo, s0
	s_delay_alu instid0(SALU_CYCLE_1)
	s_and_not1_b32 exec_lo, exec_lo, s0
	s_cbranch_execnz .LBB11_133
.LBB11_134:                             ;   in Loop: Header=BB11_2 Depth=1
	s_or_b32 exec_lo, exec_lo, s1
.LBB11_135:                             ;   in Loop: Header=BB11_2 Depth=1
	v_readfirstlane_b32 s0, v40
	s_waitcnt vmcnt(0)
	v_mov_b32_e32 v16, 0
	v_mov_b32_e32 v17, 0
	s_delay_alu instid0(VALU_DEP_3) | instskip(NEXT) | instid1(VALU_DEP_1)
	v_cmp_eq_u32_e64 s0, s0, v40
	s_and_saveexec_b32 s1, s0
	s_cbranch_execz .LBB11_141
; %bb.136:                              ;   in Loop: Header=BB11_2 Depth=1
	global_load_b64 v[22:23], v1, s[8:9] offset:24 glc
	s_waitcnt vmcnt(0)
	buffer_gl1_inv
	buffer_gl0_inv
	s_clause 0x1
	global_load_b64 v[16:17], v1, s[8:9] offset:40
	global_load_b64 v[20:21], v1, s[8:9]
	s_mov_b32 s10, exec_lo
	s_waitcnt vmcnt(1)
	v_and_b32_e32 v0, v17, v23
	v_and_b32_e32 v16, v16, v22
	s_delay_alu instid0(VALU_DEP_2) | instskip(NEXT) | instid1(VALU_DEP_2)
	v_mul_lo_u32 v0, v0, 24
	v_mul_hi_u32 v17, v16, 24
	v_mul_lo_u32 v16, v16, 24
	s_delay_alu instid0(VALU_DEP_2) | instskip(SKIP_1) | instid1(VALU_DEP_2)
	v_add_nc_u32_e32 v0, v17, v0
	s_waitcnt vmcnt(0)
	v_add_co_u32 v16, vcc_lo, v20, v16
	s_delay_alu instid0(VALU_DEP_2)
	v_add_co_ci_u32_e32 v17, vcc_lo, v21, v0, vcc_lo
	global_load_b64 v[20:21], v[16:17], off glc
	s_waitcnt vmcnt(0)
	global_atomic_cmpswap_b64 v[16:17], v1, v[20:23], s[8:9] offset:24 glc
	s_waitcnt vmcnt(0)
	buffer_gl1_inv
	buffer_gl0_inv
	v_cmpx_ne_u64_e64 v[16:17], v[22:23]
	s_cbranch_execz .LBB11_140
; %bb.137:                              ;   in Loop: Header=BB11_2 Depth=1
	s_mov_b32 s11, 0
	.p2align	6
.LBB11_138:                             ;   Parent Loop BB11_2 Depth=1
                                        ; =>  This Inner Loop Header: Depth=2
	s_sleep 1
	s_clause 0x1
	global_load_b64 v[20:21], v1, s[8:9] offset:40
	global_load_b64 v[24:25], v1, s[8:9]
	v_dual_mov_b32 v23, v17 :: v_dual_mov_b32 v22, v16
	s_waitcnt vmcnt(1)
	s_delay_alu instid0(VALU_DEP_1) | instskip(SKIP_1) | instid1(VALU_DEP_1)
	v_and_b32_e32 v0, v20, v22
	s_waitcnt vmcnt(0)
	v_mad_u64_u32 v[16:17], null, v0, 24, v[24:25]
	v_and_b32_e32 v24, v21, v23
	s_delay_alu instid0(VALU_DEP_2) | instskip(NEXT) | instid1(VALU_DEP_1)
	v_mov_b32_e32 v0, v17
	v_mad_u64_u32 v[20:21], null, v24, 24, v[0:1]
	s_delay_alu instid0(VALU_DEP_1)
	v_mov_b32_e32 v17, v20
	global_load_b64 v[20:21], v[16:17], off glc
	s_waitcnt vmcnt(0)
	global_atomic_cmpswap_b64 v[16:17], v1, v[20:23], s[8:9] offset:24 glc
	s_waitcnt vmcnt(0)
	buffer_gl1_inv
	buffer_gl0_inv
	v_cmp_eq_u64_e32 vcc_lo, v[16:17], v[22:23]
	s_or_b32 s11, vcc_lo, s11
	s_delay_alu instid0(SALU_CYCLE_1)
	s_and_not1_b32 exec_lo, exec_lo, s11
	s_cbranch_execnz .LBB11_138
; %bb.139:                              ;   in Loop: Header=BB11_2 Depth=1
	s_or_b32 exec_lo, exec_lo, s11
.LBB11_140:                             ;   in Loop: Header=BB11_2 Depth=1
	s_delay_alu instid0(SALU_CYCLE_1)
	s_or_b32 exec_lo, exec_lo, s10
.LBB11_141:                             ;   in Loop: Header=BB11_2 Depth=1
	s_delay_alu instid0(SALU_CYCLE_1)
	s_or_b32 exec_lo, exec_lo, s1
	s_clause 0x1
	global_load_b64 v[20:21], v1, s[8:9] offset:40
	global_load_b128 v[22:25], v1, s[8:9]
	v_readfirstlane_b32 s10, v16
	v_readfirstlane_b32 s11, v17
	s_mov_b32 s1, exec_lo
	s_waitcnt vmcnt(1)
	v_readfirstlane_b32 s12, v20
	v_readfirstlane_b32 s13, v21
	s_delay_alu instid0(VALU_DEP_1) | instskip(NEXT) | instid1(SALU_CYCLE_1)
	s_and_b64 s[12:13], s[10:11], s[12:13]
	s_mul_i32 s14, s13, 24
	s_mul_hi_u32 s15, s12, 24
	s_mul_i32 s16, s12, 24
	s_add_i32 s15, s15, s14
	s_waitcnt vmcnt(0)
	v_add_co_u32 v26, vcc_lo, v22, s16
	v_add_co_ci_u32_e32 v27, vcc_lo, s15, v23, vcc_lo
	s_and_saveexec_b32 s14, s0
	s_cbranch_execz .LBB11_143
; %bb.142:                              ;   in Loop: Header=BB11_2 Depth=1
	v_mov_b32_e32 v0, s1
	global_store_b128 v[26:27], v[0:3], off offset:8
.LBB11_143:                             ;   in Loop: Header=BB11_2 Depth=1
	s_or_b32 exec_lo, exec_lo, s14
	s_lshl_b64 s[12:13], s[12:13], 12
	v_and_or_b32 v18, 0xffffff1f, v18, 32
	v_add_co_u32 v24, vcc_lo, v24, s12
	v_add_co_ci_u32_e32 v25, vcc_lo, s13, v25, vcc_lo
	v_dual_mov_b32 v20, s22 :: v_dual_mov_b32 v21, v1
	s_delay_alu instid0(VALU_DEP_3) | instskip(NEXT) | instid1(VALU_DEP_3)
	v_readfirstlane_b32 s12, v24
	v_readfirstlane_b32 s13, v25
	v_dual_mov_b32 v31, s7 :: v_dual_mov_b32 v30, s6
	v_dual_mov_b32 v29, s5 :: v_dual_mov_b32 v28, s4
	s_clause 0x3
	global_store_b128 v41, v[18:21], s[12:13]
	global_store_b128 v41, v[28:31], s[12:13] offset:16
	global_store_b128 v41, v[28:31], s[12:13] offset:32
	;; [unrolled: 1-line block ×3, first 2 shown]
	s_and_saveexec_b32 s1, s0
	s_cbranch_execz .LBB11_151
; %bb.144:                              ;   in Loop: Header=BB11_2 Depth=1
	s_clause 0x1
	global_load_b64 v[30:31], v1, s[8:9] offset:32 glc
	global_load_b64 v[16:17], v1, s[8:9] offset:40
	v_dual_mov_b32 v28, s10 :: v_dual_mov_b32 v29, s11
	s_waitcnt vmcnt(0)
	v_readfirstlane_b32 s12, v16
	v_readfirstlane_b32 s13, v17
	s_delay_alu instid0(VALU_DEP_1) | instskip(NEXT) | instid1(SALU_CYCLE_1)
	s_and_b64 s[12:13], s[12:13], s[10:11]
	s_mul_i32 s13, s13, 24
	s_mul_hi_u32 s14, s12, 24
	s_mul_i32 s12, s12, 24
	s_add_i32 s14, s14, s13
	v_add_co_u32 v20, vcc_lo, v22, s12
	v_add_co_ci_u32_e32 v21, vcc_lo, s14, v23, vcc_lo
	s_mov_b32 s12, exec_lo
	global_store_b64 v[20:21], v[30:31], off
	s_waitcnt_vscnt null, 0x0
	global_atomic_cmpswap_b64 v[18:19], v1, v[28:31], s[8:9] offset:32 glc
	s_waitcnt vmcnt(0)
	v_cmpx_ne_u64_e64 v[18:19], v[30:31]
	s_cbranch_execz .LBB11_147
; %bb.145:                              ;   in Loop: Header=BB11_2 Depth=1
	s_mov_b32 s13, 0
.LBB11_146:                             ;   Parent Loop BB11_2 Depth=1
                                        ; =>  This Inner Loop Header: Depth=2
	v_dual_mov_b32 v16, s10 :: v_dual_mov_b32 v17, s11
	s_sleep 1
	global_store_b64 v[20:21], v[18:19], off
	s_waitcnt_vscnt null, 0x0
	global_atomic_cmpswap_b64 v[16:17], v1, v[16:19], s[8:9] offset:32 glc
	s_waitcnt vmcnt(0)
	v_cmp_eq_u64_e32 vcc_lo, v[16:17], v[18:19]
	v_dual_mov_b32 v19, v17 :: v_dual_mov_b32 v18, v16
	s_or_b32 s13, vcc_lo, s13
	s_delay_alu instid0(SALU_CYCLE_1)
	s_and_not1_b32 exec_lo, exec_lo, s13
	s_cbranch_execnz .LBB11_146
.LBB11_147:                             ;   in Loop: Header=BB11_2 Depth=1
	s_or_b32 exec_lo, exec_lo, s12
	global_load_b64 v[16:17], v1, s[8:9] offset:16
	s_mov_b32 s13, exec_lo
	s_mov_b32 s12, exec_lo
	v_mbcnt_lo_u32_b32 v0, s13, 0
	s_delay_alu instid0(VALU_DEP_1)
	v_cmpx_eq_u32_e32 0, v0
	s_cbranch_execz .LBB11_149
; %bb.148:                              ;   in Loop: Header=BB11_2 Depth=1
	s_bcnt1_i32_b32 s13, s13
	s_delay_alu instid0(SALU_CYCLE_1)
	v_mov_b32_e32 v0, s13
	s_waitcnt vmcnt(0)
	global_atomic_add_u64 v[16:17], v[0:1], off offset:8
.LBB11_149:                             ;   in Loop: Header=BB11_2 Depth=1
	s_or_b32 exec_lo, exec_lo, s12
	s_waitcnt vmcnt(0)
	global_load_b64 v[18:19], v[16:17], off offset:16
	s_waitcnt vmcnt(0)
	v_cmp_eq_u64_e32 vcc_lo, 0, v[18:19]
	s_cbranch_vccnz .LBB11_151
; %bb.150:                              ;   in Loop: Header=BB11_2 Depth=1
	global_load_b32 v0, v[16:17], off offset:24
	s_waitcnt vmcnt(0)
	v_and_b32_e32 v16, 0xffffff, v0
	s_waitcnt_vscnt null, 0x0
	global_store_b64 v[18:19], v[0:1], off
	v_readfirstlane_b32 m0, v16
	s_sendmsg sendmsg(MSG_INTERRUPT)
.LBB11_151:                             ;   in Loop: Header=BB11_2 Depth=1
	s_or_b32 exec_lo, exec_lo, s1
	v_add_co_u32 v16, vcc_lo, v24, v41
	v_add_co_ci_u32_e32 v17, vcc_lo, 0, v25, vcc_lo
	s_branch .LBB11_155
	.p2align	6
.LBB11_152:                             ;   in Loop: Header=BB11_155 Depth=2
	s_or_b32 exec_lo, exec_lo, s1
	s_delay_alu instid0(VALU_DEP_1) | instskip(NEXT) | instid1(VALU_DEP_1)
	v_readfirstlane_b32 s1, v0
	s_cmp_eq_u32 s1, 0
	s_cbranch_scc1 .LBB11_154
; %bb.153:                              ;   in Loop: Header=BB11_155 Depth=2
	s_sleep 1
	s_cbranch_execnz .LBB11_155
	s_branch .LBB11_157
	.p2align	6
.LBB11_154:                             ;   in Loop: Header=BB11_2 Depth=1
	s_branch .LBB11_157
.LBB11_155:                             ;   Parent Loop BB11_2 Depth=1
                                        ; =>  This Inner Loop Header: Depth=2
	v_mov_b32_e32 v0, 1
	s_and_saveexec_b32 s1, s0
	s_cbranch_execz .LBB11_152
; %bb.156:                              ;   in Loop: Header=BB11_155 Depth=2
	global_load_b32 v0, v[26:27], off offset:20 glc
	s_waitcnt vmcnt(0)
	buffer_gl1_inv
	buffer_gl0_inv
	v_and_b32_e32 v0, 1, v0
	s_branch .LBB11_152
.LBB11_157:                             ;   in Loop: Header=BB11_2 Depth=1
	global_load_b64 v[16:17], v[16:17], off
	s_and_saveexec_b32 s1, s0
	s_cbranch_execz .LBB11_161
; %bb.158:                              ;   in Loop: Header=BB11_2 Depth=1
	s_clause 0x2
	global_load_b64 v[20:21], v1, s[8:9] offset:40
	global_load_b64 v[24:25], v1, s[8:9] offset:24 glc
	global_load_b64 v[22:23], v1, s[8:9]
	s_waitcnt vmcnt(2)
	v_add_co_u32 v0, vcc_lo, v20, 1
	v_add_co_ci_u32_e32 v26, vcc_lo, 0, v21, vcc_lo
	s_delay_alu instid0(VALU_DEP_2) | instskip(NEXT) | instid1(VALU_DEP_2)
	v_add_co_u32 v18, vcc_lo, v0, s10
	v_add_co_ci_u32_e32 v19, vcc_lo, s11, v26, vcc_lo
	s_delay_alu instid0(VALU_DEP_1) | instskip(SKIP_1) | instid1(VALU_DEP_1)
	v_cmp_eq_u64_e32 vcc_lo, 0, v[18:19]
	v_dual_cndmask_b32 v19, v19, v26 :: v_dual_cndmask_b32 v18, v18, v0
	v_and_b32_e32 v0, v19, v21
	s_delay_alu instid0(VALU_DEP_2) | instskip(NEXT) | instid1(VALU_DEP_2)
	v_and_b32_e32 v20, v18, v20
	v_mul_lo_u32 v0, v0, 24
	s_delay_alu instid0(VALU_DEP_2) | instskip(SKIP_1) | instid1(VALU_DEP_2)
	v_mul_hi_u32 v21, v20, 24
	v_mul_lo_u32 v20, v20, 24
	v_add_nc_u32_e32 v0, v21, v0
	s_waitcnt vmcnt(1)
	v_mov_b32_e32 v21, v25
	s_waitcnt vmcnt(0)
	s_delay_alu instid0(VALU_DEP_3)
	v_add_co_u32 v22, vcc_lo, v22, v20
	v_mov_b32_e32 v20, v24
	v_add_co_ci_u32_e32 v23, vcc_lo, v23, v0, vcc_lo
	global_store_b64 v[22:23], v[24:25], off
	s_waitcnt_vscnt null, 0x0
	global_atomic_cmpswap_b64 v[20:21], v1, v[18:21], s[8:9] offset:24 glc
	s_waitcnt vmcnt(0)
	v_cmp_ne_u64_e32 vcc_lo, v[20:21], v[24:25]
	s_and_b32 exec_lo, exec_lo, vcc_lo
	s_cbranch_execz .LBB11_161
; %bb.159:                              ;   in Loop: Header=BB11_2 Depth=1
	s_mov_b32 s0, 0
.LBB11_160:                             ;   Parent Loop BB11_2 Depth=1
                                        ; =>  This Inner Loop Header: Depth=2
	s_sleep 1
	global_store_b64 v[22:23], v[20:21], off
	s_waitcnt_vscnt null, 0x0
	global_atomic_cmpswap_b64 v[24:25], v1, v[18:21], s[8:9] offset:24 glc
	s_waitcnt vmcnt(0)
	v_cmp_eq_u64_e32 vcc_lo, v[24:25], v[20:21]
	v_dual_mov_b32 v20, v24 :: v_dual_mov_b32 v21, v25
	s_or_b32 s0, vcc_lo, s0
	s_delay_alu instid0(SALU_CYCLE_1)
	s_and_not1_b32 exec_lo, exec_lo, s0
	s_cbranch_execnz .LBB11_160
.LBB11_161:                             ;   in Loop: Header=BB11_2 Depth=1
	s_or_b32 exec_lo, exec_lo, s1
	v_readfirstlane_b32 s0, v40
	v_mov_b32_e32 v18, 0
	v_mov_b32_e32 v19, 0
	s_delay_alu instid0(VALU_DEP_3) | instskip(NEXT) | instid1(VALU_DEP_1)
	v_cmp_eq_u32_e64 s0, s0, v40
	s_and_saveexec_b32 s1, s0
	s_cbranch_execz .LBB11_167
; %bb.162:                              ;   in Loop: Header=BB11_2 Depth=1
	global_load_b64 v[20:21], v1, s[8:9] offset:24 glc
	s_waitcnt vmcnt(0)
	buffer_gl1_inv
	buffer_gl0_inv
	s_clause 0x1
	global_load_b64 v[18:19], v1, s[8:9] offset:40
	global_load_b64 v[22:23], v1, s[8:9]
	s_mov_b32 s10, exec_lo
	s_waitcnt vmcnt(1)
	v_and_b32_e32 v0, v19, v21
	v_and_b32_e32 v18, v18, v20
	s_delay_alu instid0(VALU_DEP_2) | instskip(NEXT) | instid1(VALU_DEP_2)
	v_mul_lo_u32 v0, v0, 24
	v_mul_hi_u32 v19, v18, 24
	v_mul_lo_u32 v18, v18, 24
	s_delay_alu instid0(VALU_DEP_2) | instskip(SKIP_1) | instid1(VALU_DEP_2)
	v_add_nc_u32_e32 v0, v19, v0
	s_waitcnt vmcnt(0)
	v_add_co_u32 v18, vcc_lo, v22, v18
	s_delay_alu instid0(VALU_DEP_2)
	v_add_co_ci_u32_e32 v19, vcc_lo, v23, v0, vcc_lo
	global_load_b64 v[18:19], v[18:19], off glc
	s_waitcnt vmcnt(0)
	global_atomic_cmpswap_b64 v[18:19], v1, v[18:21], s[8:9] offset:24 glc
	s_waitcnt vmcnt(0)
	buffer_gl1_inv
	buffer_gl0_inv
	v_cmpx_ne_u64_e64 v[18:19], v[20:21]
	s_cbranch_execz .LBB11_166
; %bb.163:                              ;   in Loop: Header=BB11_2 Depth=1
	s_mov_b32 s11, 0
	.p2align	6
.LBB11_164:                             ;   Parent Loop BB11_2 Depth=1
                                        ; =>  This Inner Loop Header: Depth=2
	s_sleep 1
	s_clause 0x1
	global_load_b64 v[22:23], v1, s[8:9] offset:40
	global_load_b64 v[24:25], v1, s[8:9]
	v_dual_mov_b32 v21, v19 :: v_dual_mov_b32 v20, v18
	s_waitcnt vmcnt(1)
	s_delay_alu instid0(VALU_DEP_1) | instskip(SKIP_1) | instid1(VALU_DEP_1)
	v_and_b32_e32 v0, v22, v20
	s_waitcnt vmcnt(0)
	v_mad_u64_u32 v[18:19], null, v0, 24, v[24:25]
	v_and_b32_e32 v24, v23, v21
	s_delay_alu instid0(VALU_DEP_2) | instskip(NEXT) | instid1(VALU_DEP_1)
	v_mov_b32_e32 v0, v19
	v_mad_u64_u32 v[22:23], null, v24, 24, v[0:1]
	s_delay_alu instid0(VALU_DEP_1)
	v_mov_b32_e32 v19, v22
	global_load_b64 v[18:19], v[18:19], off glc
	s_waitcnt vmcnt(0)
	global_atomic_cmpswap_b64 v[18:19], v1, v[18:21], s[8:9] offset:24 glc
	s_waitcnt vmcnt(0)
	buffer_gl1_inv
	buffer_gl0_inv
	v_cmp_eq_u64_e32 vcc_lo, v[18:19], v[20:21]
	s_or_b32 s11, vcc_lo, s11
	s_delay_alu instid0(SALU_CYCLE_1)
	s_and_not1_b32 exec_lo, exec_lo, s11
	s_cbranch_execnz .LBB11_164
; %bb.165:                              ;   in Loop: Header=BB11_2 Depth=1
	s_or_b32 exec_lo, exec_lo, s11
.LBB11_166:                             ;   in Loop: Header=BB11_2 Depth=1
	s_delay_alu instid0(SALU_CYCLE_1)
	s_or_b32 exec_lo, exec_lo, s10
.LBB11_167:                             ;   in Loop: Header=BB11_2 Depth=1
	s_delay_alu instid0(SALU_CYCLE_1)
	s_or_b32 exec_lo, exec_lo, s1
	s_clause 0x1
	global_load_b64 v[24:25], v1, s[8:9] offset:40
	global_load_b128 v[20:23], v1, s[8:9]
	v_readfirstlane_b32 s10, v18
	v_readfirstlane_b32 s11, v19
	s_mov_b32 s1, exec_lo
	s_waitcnt vmcnt(1)
	v_readfirstlane_b32 s12, v24
	v_readfirstlane_b32 s13, v25
	s_delay_alu instid0(VALU_DEP_1) | instskip(NEXT) | instid1(SALU_CYCLE_1)
	s_and_b64 s[12:13], s[10:11], s[12:13]
	s_mul_i32 s14, s13, 24
	s_mul_hi_u32 s15, s12, 24
	s_mul_i32 s16, s12, 24
	s_add_i32 s15, s15, s14
	s_waitcnt vmcnt(0)
	v_add_co_u32 v24, vcc_lo, v20, s16
	v_add_co_ci_u32_e32 v25, vcc_lo, s15, v21, vcc_lo
	s_and_saveexec_b32 s14, s0
	s_cbranch_execz .LBB11_169
; %bb.168:                              ;   in Loop: Header=BB11_2 Depth=1
	v_mov_b32_e32 v0, s1
	global_store_b128 v[24:25], v[0:3], off offset:8
.LBB11_169:                             ;   in Loop: Header=BB11_2 Depth=1
	s_or_b32 exec_lo, exec_lo, s14
	s_lshl_b64 s[12:13], s[12:13], 12
	v_dual_mov_b32 v19, v1 :: v_dual_and_b32 v18, 0xffff, v42
	v_add_co_u32 v22, vcc_lo, v22, s12
	v_add_co_ci_u32_e32 v23, vcc_lo, s13, v23, vcc_lo
	v_and_or_b32 v16, 0xffffff1f, v16, 32
	s_delay_alu instid0(VALU_DEP_3) | instskip(SKIP_1) | instid1(VALU_DEP_4)
	v_readfirstlane_b32 s12, v22
	v_dual_mov_b32 v29, s7 :: v_dual_mov_b32 v28, s6
	v_readfirstlane_b32 s13, v23
	v_dual_mov_b32 v27, s5 :: v_dual_mov_b32 v26, s4
	s_clause 0x3
	global_store_b128 v41, v[16:19], s[12:13]
	global_store_b128 v41, v[26:29], s[12:13] offset:16
	global_store_b128 v41, v[26:29], s[12:13] offset:32
	;; [unrolled: 1-line block ×3, first 2 shown]
	s_and_saveexec_b32 s1, s0
	s_cbranch_execz .LBB11_177
; %bb.170:                              ;   in Loop: Header=BB11_2 Depth=1
	s_clause 0x1
	global_load_b64 v[28:29], v1, s[8:9] offset:32 glc
	global_load_b64 v[16:17], v1, s[8:9] offset:40
	v_dual_mov_b32 v26, s10 :: v_dual_mov_b32 v27, s11
	s_waitcnt vmcnt(0)
	v_readfirstlane_b32 s12, v16
	v_readfirstlane_b32 s13, v17
	s_delay_alu instid0(VALU_DEP_1) | instskip(NEXT) | instid1(SALU_CYCLE_1)
	s_and_b64 s[12:13], s[12:13], s[10:11]
	s_mul_i32 s13, s13, 24
	s_mul_hi_u32 s14, s12, 24
	s_mul_i32 s12, s12, 24
	s_add_i32 s14, s14, s13
	v_add_co_u32 v20, vcc_lo, v20, s12
	v_add_co_ci_u32_e32 v21, vcc_lo, s14, v21, vcc_lo
	s_mov_b32 s12, exec_lo
	global_store_b64 v[20:21], v[28:29], off
	s_waitcnt_vscnt null, 0x0
	global_atomic_cmpswap_b64 v[18:19], v1, v[26:29], s[8:9] offset:32 glc
	s_waitcnt vmcnt(0)
	v_cmpx_ne_u64_e64 v[18:19], v[28:29]
	s_cbranch_execz .LBB11_173
; %bb.171:                              ;   in Loop: Header=BB11_2 Depth=1
	s_mov_b32 s13, 0
.LBB11_172:                             ;   Parent Loop BB11_2 Depth=1
                                        ; =>  This Inner Loop Header: Depth=2
	v_dual_mov_b32 v16, s10 :: v_dual_mov_b32 v17, s11
	s_sleep 1
	global_store_b64 v[20:21], v[18:19], off
	s_waitcnt_vscnt null, 0x0
	global_atomic_cmpswap_b64 v[16:17], v1, v[16:19], s[8:9] offset:32 glc
	s_waitcnt vmcnt(0)
	v_cmp_eq_u64_e32 vcc_lo, v[16:17], v[18:19]
	v_dual_mov_b32 v19, v17 :: v_dual_mov_b32 v18, v16
	s_or_b32 s13, vcc_lo, s13
	s_delay_alu instid0(SALU_CYCLE_1)
	s_and_not1_b32 exec_lo, exec_lo, s13
	s_cbranch_execnz .LBB11_172
.LBB11_173:                             ;   in Loop: Header=BB11_2 Depth=1
	s_or_b32 exec_lo, exec_lo, s12
	global_load_b64 v[16:17], v1, s[8:9] offset:16
	s_mov_b32 s13, exec_lo
	s_mov_b32 s12, exec_lo
	v_mbcnt_lo_u32_b32 v0, s13, 0
	s_delay_alu instid0(VALU_DEP_1)
	v_cmpx_eq_u32_e32 0, v0
	s_cbranch_execz .LBB11_175
; %bb.174:                              ;   in Loop: Header=BB11_2 Depth=1
	s_bcnt1_i32_b32 s13, s13
	s_delay_alu instid0(SALU_CYCLE_1)
	v_mov_b32_e32 v0, s13
	s_waitcnt vmcnt(0)
	global_atomic_add_u64 v[16:17], v[0:1], off offset:8
.LBB11_175:                             ;   in Loop: Header=BB11_2 Depth=1
	s_or_b32 exec_lo, exec_lo, s12
	s_waitcnt vmcnt(0)
	global_load_b64 v[18:19], v[16:17], off offset:16
	s_waitcnt vmcnt(0)
	v_cmp_eq_u64_e32 vcc_lo, 0, v[18:19]
	s_cbranch_vccnz .LBB11_177
; %bb.176:                              ;   in Loop: Header=BB11_2 Depth=1
	global_load_b32 v0, v[16:17], off offset:24
	s_waitcnt vmcnt(0)
	v_and_b32_e32 v16, 0xffffff, v0
	s_waitcnt_vscnt null, 0x0
	global_store_b64 v[18:19], v[0:1], off
	v_readfirstlane_b32 m0, v16
	s_sendmsg sendmsg(MSG_INTERRUPT)
.LBB11_177:                             ;   in Loop: Header=BB11_2 Depth=1
	s_or_b32 exec_lo, exec_lo, s1
	v_add_co_u32 v16, vcc_lo, v22, v41
	v_add_co_ci_u32_e32 v17, vcc_lo, 0, v23, vcc_lo
	s_branch .LBB11_181
	.p2align	6
.LBB11_178:                             ;   in Loop: Header=BB11_181 Depth=2
	s_or_b32 exec_lo, exec_lo, s1
	s_delay_alu instid0(VALU_DEP_1) | instskip(NEXT) | instid1(VALU_DEP_1)
	v_readfirstlane_b32 s1, v0
	s_cmp_eq_u32 s1, 0
	s_cbranch_scc1 .LBB11_180
; %bb.179:                              ;   in Loop: Header=BB11_181 Depth=2
	s_sleep 1
	s_cbranch_execnz .LBB11_181
	s_branch .LBB11_183
	.p2align	6
.LBB11_180:                             ;   in Loop: Header=BB11_2 Depth=1
	s_branch .LBB11_183
.LBB11_181:                             ;   Parent Loop BB11_2 Depth=1
                                        ; =>  This Inner Loop Header: Depth=2
	v_mov_b32_e32 v0, 1
	s_and_saveexec_b32 s1, s0
	s_cbranch_execz .LBB11_178
; %bb.182:                              ;   in Loop: Header=BB11_181 Depth=2
	global_load_b32 v0, v[24:25], off offset:20 glc
	s_waitcnt vmcnt(0)
	buffer_gl1_inv
	buffer_gl0_inv
	v_and_b32_e32 v0, 1, v0
	s_branch .LBB11_178
.LBB11_183:                             ;   in Loop: Header=BB11_2 Depth=1
	global_load_b64 v[16:17], v[16:17], off
	s_and_saveexec_b32 s1, s0
	s_cbranch_execz .LBB11_187
; %bb.184:                              ;   in Loop: Header=BB11_2 Depth=1
	s_clause 0x2
	global_load_b64 v[20:21], v1, s[8:9] offset:40
	global_load_b64 v[24:25], v1, s[8:9] offset:24 glc
	global_load_b64 v[22:23], v1, s[8:9]
	s_waitcnt vmcnt(2)
	v_add_co_u32 v0, vcc_lo, v20, 1
	v_add_co_ci_u32_e32 v26, vcc_lo, 0, v21, vcc_lo
	s_delay_alu instid0(VALU_DEP_2) | instskip(NEXT) | instid1(VALU_DEP_2)
	v_add_co_u32 v18, vcc_lo, v0, s10
	v_add_co_ci_u32_e32 v19, vcc_lo, s11, v26, vcc_lo
	s_delay_alu instid0(VALU_DEP_1) | instskip(SKIP_1) | instid1(VALU_DEP_1)
	v_cmp_eq_u64_e32 vcc_lo, 0, v[18:19]
	v_dual_cndmask_b32 v19, v19, v26 :: v_dual_cndmask_b32 v18, v18, v0
	v_and_b32_e32 v0, v19, v21
	s_delay_alu instid0(VALU_DEP_2) | instskip(NEXT) | instid1(VALU_DEP_2)
	v_and_b32_e32 v20, v18, v20
	v_mul_lo_u32 v0, v0, 24
	s_delay_alu instid0(VALU_DEP_2) | instskip(SKIP_1) | instid1(VALU_DEP_2)
	v_mul_hi_u32 v21, v20, 24
	v_mul_lo_u32 v20, v20, 24
	v_add_nc_u32_e32 v0, v21, v0
	s_waitcnt vmcnt(1)
	v_mov_b32_e32 v21, v25
	s_waitcnt vmcnt(0)
	s_delay_alu instid0(VALU_DEP_3)
	v_add_co_u32 v22, vcc_lo, v22, v20
	v_mov_b32_e32 v20, v24
	v_add_co_ci_u32_e32 v23, vcc_lo, v23, v0, vcc_lo
	global_store_b64 v[22:23], v[24:25], off
	s_waitcnt_vscnt null, 0x0
	global_atomic_cmpswap_b64 v[20:21], v1, v[18:21], s[8:9] offset:24 glc
	s_waitcnt vmcnt(0)
	v_cmp_ne_u64_e32 vcc_lo, v[20:21], v[24:25]
	s_and_b32 exec_lo, exec_lo, vcc_lo
	s_cbranch_execz .LBB11_187
; %bb.185:                              ;   in Loop: Header=BB11_2 Depth=1
	s_mov_b32 s0, 0
.LBB11_186:                             ;   Parent Loop BB11_2 Depth=1
                                        ; =>  This Inner Loop Header: Depth=2
	s_sleep 1
	global_store_b64 v[22:23], v[20:21], off
	s_waitcnt_vscnt null, 0x0
	global_atomic_cmpswap_b64 v[24:25], v1, v[18:21], s[8:9] offset:24 glc
	s_waitcnt vmcnt(0)
	v_cmp_eq_u64_e32 vcc_lo, v[24:25], v[20:21]
	v_dual_mov_b32 v20, v24 :: v_dual_mov_b32 v21, v25
	s_or_b32 s0, vcc_lo, s0
	s_delay_alu instid0(SALU_CYCLE_1)
	s_and_not1_b32 exec_lo, exec_lo, s0
	s_cbranch_execnz .LBB11_186
.LBB11_187:                             ;   in Loop: Header=BB11_2 Depth=1
	s_or_b32 exec_lo, exec_lo, s1
	v_readfirstlane_b32 s0, v40
	v_mov_b32_e32 v18, 0
	v_mov_b32_e32 v19, 0
	s_delay_alu instid0(VALU_DEP_3) | instskip(NEXT) | instid1(VALU_DEP_1)
	v_cmp_eq_u32_e64 s0, s0, v40
	s_and_saveexec_b32 s1, s0
	s_cbranch_execz .LBB11_193
; %bb.188:                              ;   in Loop: Header=BB11_2 Depth=1
	global_load_b64 v[20:21], v1, s[8:9] offset:24 glc
	s_waitcnt vmcnt(0)
	buffer_gl1_inv
	buffer_gl0_inv
	s_clause 0x1
	global_load_b64 v[18:19], v1, s[8:9] offset:40
	global_load_b64 v[22:23], v1, s[8:9]
	s_mov_b32 s10, exec_lo
	s_waitcnt vmcnt(1)
	v_and_b32_e32 v0, v19, v21
	v_and_b32_e32 v18, v18, v20
	s_delay_alu instid0(VALU_DEP_2) | instskip(NEXT) | instid1(VALU_DEP_2)
	v_mul_lo_u32 v0, v0, 24
	v_mul_hi_u32 v19, v18, 24
	v_mul_lo_u32 v18, v18, 24
	s_delay_alu instid0(VALU_DEP_2) | instskip(SKIP_1) | instid1(VALU_DEP_2)
	v_add_nc_u32_e32 v0, v19, v0
	s_waitcnt vmcnt(0)
	v_add_co_u32 v18, vcc_lo, v22, v18
	s_delay_alu instid0(VALU_DEP_2)
	v_add_co_ci_u32_e32 v19, vcc_lo, v23, v0, vcc_lo
	global_load_b64 v[18:19], v[18:19], off glc
	s_waitcnt vmcnt(0)
	global_atomic_cmpswap_b64 v[18:19], v1, v[18:21], s[8:9] offset:24 glc
	s_waitcnt vmcnt(0)
	buffer_gl1_inv
	buffer_gl0_inv
	v_cmpx_ne_u64_e64 v[18:19], v[20:21]
	s_cbranch_execz .LBB11_192
; %bb.189:                              ;   in Loop: Header=BB11_2 Depth=1
	s_mov_b32 s11, 0
	.p2align	6
.LBB11_190:                             ;   Parent Loop BB11_2 Depth=1
                                        ; =>  This Inner Loop Header: Depth=2
	s_sleep 1
	s_clause 0x1
	global_load_b64 v[22:23], v1, s[8:9] offset:40
	global_load_b64 v[24:25], v1, s[8:9]
	v_dual_mov_b32 v21, v19 :: v_dual_mov_b32 v20, v18
	s_waitcnt vmcnt(1)
	s_delay_alu instid0(VALU_DEP_1) | instskip(SKIP_1) | instid1(VALU_DEP_1)
	v_and_b32_e32 v0, v22, v20
	s_waitcnt vmcnt(0)
	v_mad_u64_u32 v[18:19], null, v0, 24, v[24:25]
	v_and_b32_e32 v24, v23, v21
	s_delay_alu instid0(VALU_DEP_2) | instskip(NEXT) | instid1(VALU_DEP_1)
	v_mov_b32_e32 v0, v19
	v_mad_u64_u32 v[22:23], null, v24, 24, v[0:1]
	s_delay_alu instid0(VALU_DEP_1)
	v_mov_b32_e32 v19, v22
	global_load_b64 v[18:19], v[18:19], off glc
	s_waitcnt vmcnt(0)
	global_atomic_cmpswap_b64 v[18:19], v1, v[18:21], s[8:9] offset:24 glc
	s_waitcnt vmcnt(0)
	buffer_gl1_inv
	buffer_gl0_inv
	v_cmp_eq_u64_e32 vcc_lo, v[18:19], v[20:21]
	s_or_b32 s11, vcc_lo, s11
	s_delay_alu instid0(SALU_CYCLE_1)
	s_and_not1_b32 exec_lo, exec_lo, s11
	s_cbranch_execnz .LBB11_190
; %bb.191:                              ;   in Loop: Header=BB11_2 Depth=1
	s_or_b32 exec_lo, exec_lo, s11
.LBB11_192:                             ;   in Loop: Header=BB11_2 Depth=1
	s_delay_alu instid0(SALU_CYCLE_1)
	s_or_b32 exec_lo, exec_lo, s10
.LBB11_193:                             ;   in Loop: Header=BB11_2 Depth=1
	s_delay_alu instid0(SALU_CYCLE_1)
	s_or_b32 exec_lo, exec_lo, s1
	s_clause 0x1
	global_load_b64 v[24:25], v1, s[8:9] offset:40
	global_load_b128 v[20:23], v1, s[8:9]
	v_readfirstlane_b32 s10, v18
	v_readfirstlane_b32 s11, v19
	s_mov_b32 s1, exec_lo
	s_waitcnt vmcnt(1)
	v_readfirstlane_b32 s12, v24
	v_readfirstlane_b32 s13, v25
	s_delay_alu instid0(VALU_DEP_1) | instskip(NEXT) | instid1(SALU_CYCLE_1)
	s_and_b64 s[12:13], s[10:11], s[12:13]
	s_mul_i32 s14, s13, 24
	s_mul_hi_u32 s15, s12, 24
	s_mul_i32 s16, s12, 24
	s_add_i32 s15, s15, s14
	s_waitcnt vmcnt(0)
	v_add_co_u32 v24, vcc_lo, v20, s16
	v_add_co_ci_u32_e32 v25, vcc_lo, s15, v21, vcc_lo
	s_and_saveexec_b32 s14, s0
	s_cbranch_execz .LBB11_195
; %bb.194:                              ;   in Loop: Header=BB11_2 Depth=1
	v_mov_b32_e32 v0, s1
	global_store_b128 v[24:25], v[0:3], off offset:8
.LBB11_195:                             ;   in Loop: Header=BB11_2 Depth=1
	s_or_b32 exec_lo, exec_lo, s14
	s_lshl_b64 s[12:13], s[12:13], 12
	v_dual_mov_b32 v19, v1 :: v_dual_and_b32 v18, 0xff, v43
	v_add_co_u32 v22, vcc_lo, v22, s12
	v_add_co_ci_u32_e32 v23, vcc_lo, s13, v23, vcc_lo
	v_and_or_b32 v16, 0xffffff1f, v16, 32
	s_delay_alu instid0(VALU_DEP_3) | instskip(SKIP_1) | instid1(VALU_DEP_4)
	v_readfirstlane_b32 s12, v22
	v_dual_mov_b32 v29, s7 :: v_dual_mov_b32 v28, s6
	v_readfirstlane_b32 s13, v23
	v_dual_mov_b32 v27, s5 :: v_dual_mov_b32 v26, s4
	s_clause 0x3
	global_store_b128 v41, v[16:19], s[12:13]
	global_store_b128 v41, v[26:29], s[12:13] offset:16
	global_store_b128 v41, v[26:29], s[12:13] offset:32
	;; [unrolled: 1-line block ×3, first 2 shown]
	s_and_saveexec_b32 s1, s0
	s_cbranch_execz .LBB11_203
; %bb.196:                              ;   in Loop: Header=BB11_2 Depth=1
	s_clause 0x1
	global_load_b64 v[28:29], v1, s[8:9] offset:32 glc
	global_load_b64 v[16:17], v1, s[8:9] offset:40
	v_dual_mov_b32 v26, s10 :: v_dual_mov_b32 v27, s11
	s_waitcnt vmcnt(0)
	v_readfirstlane_b32 s12, v16
	v_readfirstlane_b32 s13, v17
	s_delay_alu instid0(VALU_DEP_1) | instskip(NEXT) | instid1(SALU_CYCLE_1)
	s_and_b64 s[12:13], s[12:13], s[10:11]
	s_mul_i32 s13, s13, 24
	s_mul_hi_u32 s14, s12, 24
	s_mul_i32 s12, s12, 24
	s_add_i32 s14, s14, s13
	v_add_co_u32 v20, vcc_lo, v20, s12
	v_add_co_ci_u32_e32 v21, vcc_lo, s14, v21, vcc_lo
	s_mov_b32 s12, exec_lo
	global_store_b64 v[20:21], v[28:29], off
	s_waitcnt_vscnt null, 0x0
	global_atomic_cmpswap_b64 v[18:19], v1, v[26:29], s[8:9] offset:32 glc
	s_waitcnt vmcnt(0)
	v_cmpx_ne_u64_e64 v[18:19], v[28:29]
	s_cbranch_execz .LBB11_199
; %bb.197:                              ;   in Loop: Header=BB11_2 Depth=1
	s_mov_b32 s13, 0
.LBB11_198:                             ;   Parent Loop BB11_2 Depth=1
                                        ; =>  This Inner Loop Header: Depth=2
	v_dual_mov_b32 v16, s10 :: v_dual_mov_b32 v17, s11
	s_sleep 1
	global_store_b64 v[20:21], v[18:19], off
	s_waitcnt_vscnt null, 0x0
	global_atomic_cmpswap_b64 v[16:17], v1, v[16:19], s[8:9] offset:32 glc
	s_waitcnt vmcnt(0)
	v_cmp_eq_u64_e32 vcc_lo, v[16:17], v[18:19]
	v_dual_mov_b32 v19, v17 :: v_dual_mov_b32 v18, v16
	s_or_b32 s13, vcc_lo, s13
	s_delay_alu instid0(SALU_CYCLE_1)
	s_and_not1_b32 exec_lo, exec_lo, s13
	s_cbranch_execnz .LBB11_198
.LBB11_199:                             ;   in Loop: Header=BB11_2 Depth=1
	s_or_b32 exec_lo, exec_lo, s12
	global_load_b64 v[16:17], v1, s[8:9] offset:16
	s_mov_b32 s13, exec_lo
	s_mov_b32 s12, exec_lo
	v_mbcnt_lo_u32_b32 v0, s13, 0
	s_delay_alu instid0(VALU_DEP_1)
	v_cmpx_eq_u32_e32 0, v0
	s_cbranch_execz .LBB11_201
; %bb.200:                              ;   in Loop: Header=BB11_2 Depth=1
	s_bcnt1_i32_b32 s13, s13
	s_delay_alu instid0(SALU_CYCLE_1)
	v_mov_b32_e32 v0, s13
	s_waitcnt vmcnt(0)
	global_atomic_add_u64 v[16:17], v[0:1], off offset:8
.LBB11_201:                             ;   in Loop: Header=BB11_2 Depth=1
	s_or_b32 exec_lo, exec_lo, s12
	s_waitcnt vmcnt(0)
	global_load_b64 v[18:19], v[16:17], off offset:16
	s_waitcnt vmcnt(0)
	v_cmp_eq_u64_e32 vcc_lo, 0, v[18:19]
	s_cbranch_vccnz .LBB11_203
; %bb.202:                              ;   in Loop: Header=BB11_2 Depth=1
	global_load_b32 v0, v[16:17], off offset:24
	s_waitcnt vmcnt(0)
	v_and_b32_e32 v16, 0xffffff, v0
	s_waitcnt_vscnt null, 0x0
	global_store_b64 v[18:19], v[0:1], off
	v_readfirstlane_b32 m0, v16
	s_sendmsg sendmsg(MSG_INTERRUPT)
.LBB11_203:                             ;   in Loop: Header=BB11_2 Depth=1
	s_or_b32 exec_lo, exec_lo, s1
	v_add_co_u32 v16, vcc_lo, v22, v41
	v_add_co_ci_u32_e32 v17, vcc_lo, 0, v23, vcc_lo
	s_branch .LBB11_207
	.p2align	6
.LBB11_204:                             ;   in Loop: Header=BB11_207 Depth=2
	s_or_b32 exec_lo, exec_lo, s1
	s_delay_alu instid0(VALU_DEP_1) | instskip(NEXT) | instid1(VALU_DEP_1)
	v_readfirstlane_b32 s1, v0
	s_cmp_eq_u32 s1, 0
	s_cbranch_scc1 .LBB11_206
; %bb.205:                              ;   in Loop: Header=BB11_207 Depth=2
	s_sleep 1
	s_cbranch_execnz .LBB11_207
	s_branch .LBB11_209
	.p2align	6
.LBB11_206:                             ;   in Loop: Header=BB11_2 Depth=1
	s_branch .LBB11_209
.LBB11_207:                             ;   Parent Loop BB11_2 Depth=1
                                        ; =>  This Inner Loop Header: Depth=2
	v_mov_b32_e32 v0, 1
	s_and_saveexec_b32 s1, s0
	s_cbranch_execz .LBB11_204
; %bb.208:                              ;   in Loop: Header=BB11_207 Depth=2
	global_load_b32 v0, v[24:25], off offset:20 glc
	s_waitcnt vmcnt(0)
	buffer_gl1_inv
	buffer_gl0_inv
	v_and_b32_e32 v0, 1, v0
	s_branch .LBB11_204
.LBB11_209:                             ;   in Loop: Header=BB11_2 Depth=1
	global_load_b64 v[16:17], v[16:17], off
	s_and_saveexec_b32 s1, s0
	s_cbranch_execz .LBB11_213
; %bb.210:                              ;   in Loop: Header=BB11_2 Depth=1
	s_clause 0x2
	global_load_b64 v[20:21], v1, s[8:9] offset:40
	global_load_b64 v[24:25], v1, s[8:9] offset:24 glc
	global_load_b64 v[22:23], v1, s[8:9]
	s_waitcnt vmcnt(2)
	v_add_co_u32 v0, vcc_lo, v20, 1
	v_add_co_ci_u32_e32 v26, vcc_lo, 0, v21, vcc_lo
	s_delay_alu instid0(VALU_DEP_2) | instskip(NEXT) | instid1(VALU_DEP_2)
	v_add_co_u32 v18, vcc_lo, v0, s10
	v_add_co_ci_u32_e32 v19, vcc_lo, s11, v26, vcc_lo
	s_delay_alu instid0(VALU_DEP_1) | instskip(SKIP_1) | instid1(VALU_DEP_1)
	v_cmp_eq_u64_e32 vcc_lo, 0, v[18:19]
	v_dual_cndmask_b32 v19, v19, v26 :: v_dual_cndmask_b32 v18, v18, v0
	v_and_b32_e32 v0, v19, v21
	s_delay_alu instid0(VALU_DEP_2) | instskip(NEXT) | instid1(VALU_DEP_2)
	v_and_b32_e32 v20, v18, v20
	v_mul_lo_u32 v0, v0, 24
	s_delay_alu instid0(VALU_DEP_2) | instskip(SKIP_1) | instid1(VALU_DEP_2)
	v_mul_hi_u32 v21, v20, 24
	v_mul_lo_u32 v20, v20, 24
	v_add_nc_u32_e32 v0, v21, v0
	s_waitcnt vmcnt(1)
	v_mov_b32_e32 v21, v25
	s_waitcnt vmcnt(0)
	s_delay_alu instid0(VALU_DEP_3)
	v_add_co_u32 v22, vcc_lo, v22, v20
	v_mov_b32_e32 v20, v24
	v_add_co_ci_u32_e32 v23, vcc_lo, v23, v0, vcc_lo
	global_store_b64 v[22:23], v[24:25], off
	s_waitcnt_vscnt null, 0x0
	global_atomic_cmpswap_b64 v[20:21], v1, v[18:21], s[8:9] offset:24 glc
	s_waitcnt vmcnt(0)
	v_cmp_ne_u64_e32 vcc_lo, v[20:21], v[24:25]
	s_and_b32 exec_lo, exec_lo, vcc_lo
	s_cbranch_execz .LBB11_213
; %bb.211:                              ;   in Loop: Header=BB11_2 Depth=1
	s_mov_b32 s0, 0
.LBB11_212:                             ;   Parent Loop BB11_2 Depth=1
                                        ; =>  This Inner Loop Header: Depth=2
	s_sleep 1
	global_store_b64 v[22:23], v[20:21], off
	s_waitcnt_vscnt null, 0x0
	global_atomic_cmpswap_b64 v[24:25], v1, v[18:21], s[8:9] offset:24 glc
	s_waitcnt vmcnt(0)
	v_cmp_eq_u64_e32 vcc_lo, v[24:25], v[20:21]
	v_dual_mov_b32 v20, v24 :: v_dual_mov_b32 v21, v25
	s_or_b32 s0, vcc_lo, s0
	s_delay_alu instid0(SALU_CYCLE_1)
	s_and_not1_b32 exec_lo, exec_lo, s0
	s_cbranch_execnz .LBB11_212
.LBB11_213:                             ;   in Loop: Header=BB11_2 Depth=1
	s_or_b32 exec_lo, exec_lo, s1
	v_readfirstlane_b32 s0, v40
	v_mov_b32_e32 v18, 0
	v_mov_b32_e32 v19, 0
	s_delay_alu instid0(VALU_DEP_3) | instskip(NEXT) | instid1(VALU_DEP_1)
	v_cmp_eq_u32_e64 s0, s0, v40
	s_and_saveexec_b32 s1, s0
	s_cbranch_execz .LBB11_219
; %bb.214:                              ;   in Loop: Header=BB11_2 Depth=1
	global_load_b64 v[20:21], v1, s[8:9] offset:24 glc
	s_waitcnt vmcnt(0)
	buffer_gl1_inv
	buffer_gl0_inv
	s_clause 0x1
	global_load_b64 v[18:19], v1, s[8:9] offset:40
	global_load_b64 v[22:23], v1, s[8:9]
	s_mov_b32 s10, exec_lo
	s_waitcnt vmcnt(1)
	v_and_b32_e32 v0, v19, v21
	v_and_b32_e32 v18, v18, v20
	s_delay_alu instid0(VALU_DEP_2) | instskip(NEXT) | instid1(VALU_DEP_2)
	v_mul_lo_u32 v0, v0, 24
	v_mul_hi_u32 v19, v18, 24
	v_mul_lo_u32 v18, v18, 24
	s_delay_alu instid0(VALU_DEP_2) | instskip(SKIP_1) | instid1(VALU_DEP_2)
	v_add_nc_u32_e32 v0, v19, v0
	s_waitcnt vmcnt(0)
	v_add_co_u32 v18, vcc_lo, v22, v18
	s_delay_alu instid0(VALU_DEP_2)
	v_add_co_ci_u32_e32 v19, vcc_lo, v23, v0, vcc_lo
	global_load_b64 v[18:19], v[18:19], off glc
	s_waitcnt vmcnt(0)
	global_atomic_cmpswap_b64 v[18:19], v1, v[18:21], s[8:9] offset:24 glc
	s_waitcnt vmcnt(0)
	buffer_gl1_inv
	buffer_gl0_inv
	v_cmpx_ne_u64_e64 v[18:19], v[20:21]
	s_cbranch_execz .LBB11_218
; %bb.215:                              ;   in Loop: Header=BB11_2 Depth=1
	s_mov_b32 s11, 0
	.p2align	6
.LBB11_216:                             ;   Parent Loop BB11_2 Depth=1
                                        ; =>  This Inner Loop Header: Depth=2
	s_sleep 1
	s_clause 0x1
	global_load_b64 v[22:23], v1, s[8:9] offset:40
	global_load_b64 v[24:25], v1, s[8:9]
	v_dual_mov_b32 v21, v19 :: v_dual_mov_b32 v20, v18
	s_waitcnt vmcnt(1)
	s_delay_alu instid0(VALU_DEP_1) | instskip(SKIP_1) | instid1(VALU_DEP_1)
	v_and_b32_e32 v0, v22, v20
	s_waitcnt vmcnt(0)
	v_mad_u64_u32 v[18:19], null, v0, 24, v[24:25]
	v_and_b32_e32 v24, v23, v21
	s_delay_alu instid0(VALU_DEP_2) | instskip(NEXT) | instid1(VALU_DEP_1)
	v_mov_b32_e32 v0, v19
	v_mad_u64_u32 v[22:23], null, v24, 24, v[0:1]
	s_delay_alu instid0(VALU_DEP_1)
	v_mov_b32_e32 v19, v22
	global_load_b64 v[18:19], v[18:19], off glc
	s_waitcnt vmcnt(0)
	global_atomic_cmpswap_b64 v[18:19], v1, v[18:21], s[8:9] offset:24 glc
	s_waitcnt vmcnt(0)
	buffer_gl1_inv
	buffer_gl0_inv
	v_cmp_eq_u64_e32 vcc_lo, v[18:19], v[20:21]
	s_or_b32 s11, vcc_lo, s11
	s_delay_alu instid0(SALU_CYCLE_1)
	s_and_not1_b32 exec_lo, exec_lo, s11
	s_cbranch_execnz .LBB11_216
; %bb.217:                              ;   in Loop: Header=BB11_2 Depth=1
	s_or_b32 exec_lo, exec_lo, s11
.LBB11_218:                             ;   in Loop: Header=BB11_2 Depth=1
	s_delay_alu instid0(SALU_CYCLE_1)
	s_or_b32 exec_lo, exec_lo, s10
.LBB11_219:                             ;   in Loop: Header=BB11_2 Depth=1
	s_delay_alu instid0(SALU_CYCLE_1)
	s_or_b32 exec_lo, exec_lo, s1
	s_clause 0x1
	global_load_b64 v[24:25], v1, s[8:9] offset:40
	global_load_b128 v[20:23], v1, s[8:9]
	v_readfirstlane_b32 s10, v18
	v_readfirstlane_b32 s11, v19
	s_mov_b32 s1, exec_lo
	s_waitcnt vmcnt(1)
	v_readfirstlane_b32 s12, v24
	v_readfirstlane_b32 s13, v25
	s_delay_alu instid0(VALU_DEP_1) | instskip(NEXT) | instid1(SALU_CYCLE_1)
	s_and_b64 s[12:13], s[10:11], s[12:13]
	s_mul_i32 s14, s13, 24
	s_mul_hi_u32 s15, s12, 24
	s_mul_i32 s16, s12, 24
	s_add_i32 s15, s15, s14
	s_waitcnt vmcnt(0)
	v_add_co_u32 v24, vcc_lo, v20, s16
	v_add_co_ci_u32_e32 v25, vcc_lo, s15, v21, vcc_lo
	s_and_saveexec_b32 s14, s0
	s_cbranch_execz .LBB11_221
; %bb.220:                              ;   in Loop: Header=BB11_2 Depth=1
	v_mov_b32_e32 v0, s1
	global_store_b128 v[24:25], v[0:3], off offset:8
.LBB11_221:                             ;   in Loop: Header=BB11_2 Depth=1
	s_or_b32 exec_lo, exec_lo, s14
	s_lshl_b64 s[12:13], s[12:13], 12
	v_bfe_u32 v18, v42, 27, 4
	v_add_co_u32 v22, vcc_lo, v22, s12
	v_add_co_ci_u32_e32 v23, vcc_lo, s13, v23, vcc_lo
	v_and_or_b32 v16, 0xffffff1f, v16, 32
	v_mov_b32_e32 v19, v1
	s_delay_alu instid0(VALU_DEP_4) | instskip(NEXT) | instid1(VALU_DEP_4)
	v_readfirstlane_b32 s12, v22
	v_readfirstlane_b32 s13, v23
	v_dual_mov_b32 v29, s7 :: v_dual_mov_b32 v26, s4
	v_dual_mov_b32 v28, s6 :: v_dual_mov_b32 v27, s5
	s_clause 0x3
	global_store_b128 v41, v[16:19], s[12:13]
	global_store_b128 v41, v[26:29], s[12:13] offset:16
	global_store_b128 v41, v[26:29], s[12:13] offset:32
	;; [unrolled: 1-line block ×3, first 2 shown]
	s_and_saveexec_b32 s1, s0
	s_cbranch_execz .LBB11_229
; %bb.222:                              ;   in Loop: Header=BB11_2 Depth=1
	s_clause 0x1
	global_load_b64 v[28:29], v1, s[8:9] offset:32 glc
	global_load_b64 v[16:17], v1, s[8:9] offset:40
	v_dual_mov_b32 v26, s10 :: v_dual_mov_b32 v27, s11
	s_waitcnt vmcnt(0)
	v_readfirstlane_b32 s12, v16
	v_readfirstlane_b32 s13, v17
	s_delay_alu instid0(VALU_DEP_1) | instskip(NEXT) | instid1(SALU_CYCLE_1)
	s_and_b64 s[12:13], s[12:13], s[10:11]
	s_mul_i32 s13, s13, 24
	s_mul_hi_u32 s14, s12, 24
	s_mul_i32 s12, s12, 24
	s_add_i32 s14, s14, s13
	v_add_co_u32 v20, vcc_lo, v20, s12
	v_add_co_ci_u32_e32 v21, vcc_lo, s14, v21, vcc_lo
	s_mov_b32 s12, exec_lo
	global_store_b64 v[20:21], v[28:29], off
	s_waitcnt_vscnt null, 0x0
	global_atomic_cmpswap_b64 v[18:19], v1, v[26:29], s[8:9] offset:32 glc
	s_waitcnt vmcnt(0)
	v_cmpx_ne_u64_e64 v[18:19], v[28:29]
	s_cbranch_execz .LBB11_225
; %bb.223:                              ;   in Loop: Header=BB11_2 Depth=1
	s_mov_b32 s13, 0
.LBB11_224:                             ;   Parent Loop BB11_2 Depth=1
                                        ; =>  This Inner Loop Header: Depth=2
	v_dual_mov_b32 v16, s10 :: v_dual_mov_b32 v17, s11
	s_sleep 1
	global_store_b64 v[20:21], v[18:19], off
	s_waitcnt_vscnt null, 0x0
	global_atomic_cmpswap_b64 v[16:17], v1, v[16:19], s[8:9] offset:32 glc
	s_waitcnt vmcnt(0)
	v_cmp_eq_u64_e32 vcc_lo, v[16:17], v[18:19]
	v_dual_mov_b32 v19, v17 :: v_dual_mov_b32 v18, v16
	s_or_b32 s13, vcc_lo, s13
	s_delay_alu instid0(SALU_CYCLE_1)
	s_and_not1_b32 exec_lo, exec_lo, s13
	s_cbranch_execnz .LBB11_224
.LBB11_225:                             ;   in Loop: Header=BB11_2 Depth=1
	s_or_b32 exec_lo, exec_lo, s12
	global_load_b64 v[16:17], v1, s[8:9] offset:16
	s_mov_b32 s13, exec_lo
	s_mov_b32 s12, exec_lo
	v_mbcnt_lo_u32_b32 v0, s13, 0
	s_delay_alu instid0(VALU_DEP_1)
	v_cmpx_eq_u32_e32 0, v0
	s_cbranch_execz .LBB11_227
; %bb.226:                              ;   in Loop: Header=BB11_2 Depth=1
	s_bcnt1_i32_b32 s13, s13
	s_delay_alu instid0(SALU_CYCLE_1)
	v_mov_b32_e32 v0, s13
	s_waitcnt vmcnt(0)
	global_atomic_add_u64 v[16:17], v[0:1], off offset:8
.LBB11_227:                             ;   in Loop: Header=BB11_2 Depth=1
	s_or_b32 exec_lo, exec_lo, s12
	s_waitcnt vmcnt(0)
	global_load_b64 v[18:19], v[16:17], off offset:16
	s_waitcnt vmcnt(0)
	v_cmp_eq_u64_e32 vcc_lo, 0, v[18:19]
	s_cbranch_vccnz .LBB11_229
; %bb.228:                              ;   in Loop: Header=BB11_2 Depth=1
	global_load_b32 v0, v[16:17], off offset:24
	s_waitcnt vmcnt(0)
	v_and_b32_e32 v16, 0xffffff, v0
	s_waitcnt_vscnt null, 0x0
	global_store_b64 v[18:19], v[0:1], off
	v_readfirstlane_b32 m0, v16
	s_sendmsg sendmsg(MSG_INTERRUPT)
.LBB11_229:                             ;   in Loop: Header=BB11_2 Depth=1
	s_or_b32 exec_lo, exec_lo, s1
	v_add_co_u32 v16, vcc_lo, v22, v41
	v_add_co_ci_u32_e32 v17, vcc_lo, 0, v23, vcc_lo
	s_branch .LBB11_233
	.p2align	6
.LBB11_230:                             ;   in Loop: Header=BB11_233 Depth=2
	s_or_b32 exec_lo, exec_lo, s1
	s_delay_alu instid0(VALU_DEP_1) | instskip(NEXT) | instid1(VALU_DEP_1)
	v_readfirstlane_b32 s1, v0
	s_cmp_eq_u32 s1, 0
	s_cbranch_scc1 .LBB11_232
; %bb.231:                              ;   in Loop: Header=BB11_233 Depth=2
	s_sleep 1
	s_cbranch_execnz .LBB11_233
	s_branch .LBB11_235
	.p2align	6
.LBB11_232:                             ;   in Loop: Header=BB11_2 Depth=1
	s_branch .LBB11_235
.LBB11_233:                             ;   Parent Loop BB11_2 Depth=1
                                        ; =>  This Inner Loop Header: Depth=2
	v_mov_b32_e32 v0, 1
	s_and_saveexec_b32 s1, s0
	s_cbranch_execz .LBB11_230
; %bb.234:                              ;   in Loop: Header=BB11_233 Depth=2
	global_load_b32 v0, v[24:25], off offset:20 glc
	s_waitcnt vmcnt(0)
	buffer_gl1_inv
	buffer_gl0_inv
	v_and_b32_e32 v0, 1, v0
	s_branch .LBB11_230
.LBB11_235:                             ;   in Loop: Header=BB11_2 Depth=1
	global_load_b64 v[16:17], v[16:17], off
	s_and_saveexec_b32 s1, s0
	s_cbranch_execz .LBB11_239
; %bb.236:                              ;   in Loop: Header=BB11_2 Depth=1
	s_clause 0x2
	global_load_b64 v[20:21], v1, s[8:9] offset:40
	global_load_b64 v[24:25], v1, s[8:9] offset:24 glc
	global_load_b64 v[22:23], v1, s[8:9]
	s_waitcnt vmcnt(2)
	v_add_co_u32 v0, vcc_lo, v20, 1
	v_add_co_ci_u32_e32 v26, vcc_lo, 0, v21, vcc_lo
	s_delay_alu instid0(VALU_DEP_2) | instskip(NEXT) | instid1(VALU_DEP_2)
	v_add_co_u32 v18, vcc_lo, v0, s10
	v_add_co_ci_u32_e32 v19, vcc_lo, s11, v26, vcc_lo
	s_delay_alu instid0(VALU_DEP_1) | instskip(SKIP_1) | instid1(VALU_DEP_1)
	v_cmp_eq_u64_e32 vcc_lo, 0, v[18:19]
	v_dual_cndmask_b32 v19, v19, v26 :: v_dual_cndmask_b32 v18, v18, v0
	v_and_b32_e32 v0, v19, v21
	s_delay_alu instid0(VALU_DEP_2) | instskip(NEXT) | instid1(VALU_DEP_2)
	v_and_b32_e32 v20, v18, v20
	v_mul_lo_u32 v0, v0, 24
	s_delay_alu instid0(VALU_DEP_2) | instskip(SKIP_1) | instid1(VALU_DEP_2)
	v_mul_hi_u32 v21, v20, 24
	v_mul_lo_u32 v20, v20, 24
	v_add_nc_u32_e32 v0, v21, v0
	s_waitcnt vmcnt(1)
	v_mov_b32_e32 v21, v25
	s_waitcnt vmcnt(0)
	s_delay_alu instid0(VALU_DEP_3)
	v_add_co_u32 v22, vcc_lo, v22, v20
	v_mov_b32_e32 v20, v24
	v_add_co_ci_u32_e32 v23, vcc_lo, v23, v0, vcc_lo
	global_store_b64 v[22:23], v[24:25], off
	s_waitcnt_vscnt null, 0x0
	global_atomic_cmpswap_b64 v[20:21], v1, v[18:21], s[8:9] offset:24 glc
	s_waitcnt vmcnt(0)
	v_cmp_ne_u64_e32 vcc_lo, v[20:21], v[24:25]
	s_and_b32 exec_lo, exec_lo, vcc_lo
	s_cbranch_execz .LBB11_239
; %bb.237:                              ;   in Loop: Header=BB11_2 Depth=1
	s_mov_b32 s0, 0
.LBB11_238:                             ;   Parent Loop BB11_2 Depth=1
                                        ; =>  This Inner Loop Header: Depth=2
	s_sleep 1
	global_store_b64 v[22:23], v[20:21], off
	s_waitcnt_vscnt null, 0x0
	global_atomic_cmpswap_b64 v[24:25], v1, v[18:21], s[8:9] offset:24 glc
	s_waitcnt vmcnt(0)
	v_cmp_eq_u64_e32 vcc_lo, v[24:25], v[20:21]
	v_dual_mov_b32 v20, v24 :: v_dual_mov_b32 v21, v25
	s_or_b32 s0, vcc_lo, s0
	s_delay_alu instid0(SALU_CYCLE_1)
	s_and_not1_b32 exec_lo, exec_lo, s0
	s_cbranch_execnz .LBB11_238
.LBB11_239:                             ;   in Loop: Header=BB11_2 Depth=1
	s_or_b32 exec_lo, exec_lo, s1
	v_readfirstlane_b32 s0, v40
	v_mov_b32_e32 v18, 0
	v_mov_b32_e32 v19, 0
	s_delay_alu instid0(VALU_DEP_3) | instskip(NEXT) | instid1(VALU_DEP_1)
	v_cmp_eq_u32_e64 s0, s0, v40
	s_and_saveexec_b32 s1, s0
	s_cbranch_execz .LBB11_245
; %bb.240:                              ;   in Loop: Header=BB11_2 Depth=1
	global_load_b64 v[20:21], v1, s[8:9] offset:24 glc
	s_waitcnt vmcnt(0)
	buffer_gl1_inv
	buffer_gl0_inv
	s_clause 0x1
	global_load_b64 v[18:19], v1, s[8:9] offset:40
	global_load_b64 v[22:23], v1, s[8:9]
	s_mov_b32 s10, exec_lo
	s_waitcnt vmcnt(1)
	v_and_b32_e32 v0, v19, v21
	v_and_b32_e32 v18, v18, v20
	s_delay_alu instid0(VALU_DEP_2) | instskip(NEXT) | instid1(VALU_DEP_2)
	v_mul_lo_u32 v0, v0, 24
	v_mul_hi_u32 v19, v18, 24
	v_mul_lo_u32 v18, v18, 24
	s_delay_alu instid0(VALU_DEP_2) | instskip(SKIP_1) | instid1(VALU_DEP_2)
	v_add_nc_u32_e32 v0, v19, v0
	s_waitcnt vmcnt(0)
	v_add_co_u32 v18, vcc_lo, v22, v18
	s_delay_alu instid0(VALU_DEP_2)
	v_add_co_ci_u32_e32 v19, vcc_lo, v23, v0, vcc_lo
	global_load_b64 v[18:19], v[18:19], off glc
	s_waitcnt vmcnt(0)
	global_atomic_cmpswap_b64 v[18:19], v1, v[18:21], s[8:9] offset:24 glc
	s_waitcnt vmcnt(0)
	buffer_gl1_inv
	buffer_gl0_inv
	v_cmpx_ne_u64_e64 v[18:19], v[20:21]
	s_cbranch_execz .LBB11_244
; %bb.241:                              ;   in Loop: Header=BB11_2 Depth=1
	s_mov_b32 s11, 0
	.p2align	6
.LBB11_242:                             ;   Parent Loop BB11_2 Depth=1
                                        ; =>  This Inner Loop Header: Depth=2
	s_sleep 1
	s_clause 0x1
	global_load_b64 v[22:23], v1, s[8:9] offset:40
	global_load_b64 v[24:25], v1, s[8:9]
	v_dual_mov_b32 v21, v19 :: v_dual_mov_b32 v20, v18
	s_waitcnt vmcnt(1)
	s_delay_alu instid0(VALU_DEP_1) | instskip(SKIP_1) | instid1(VALU_DEP_1)
	v_and_b32_e32 v0, v22, v20
	s_waitcnt vmcnt(0)
	v_mad_u64_u32 v[18:19], null, v0, 24, v[24:25]
	v_and_b32_e32 v24, v23, v21
	s_delay_alu instid0(VALU_DEP_2) | instskip(NEXT) | instid1(VALU_DEP_1)
	v_mov_b32_e32 v0, v19
	v_mad_u64_u32 v[22:23], null, v24, 24, v[0:1]
	s_delay_alu instid0(VALU_DEP_1)
	v_mov_b32_e32 v19, v22
	global_load_b64 v[18:19], v[18:19], off glc
	s_waitcnt vmcnt(0)
	global_atomic_cmpswap_b64 v[18:19], v1, v[18:21], s[8:9] offset:24 glc
	s_waitcnt vmcnt(0)
	buffer_gl1_inv
	buffer_gl0_inv
	v_cmp_eq_u64_e32 vcc_lo, v[18:19], v[20:21]
	s_or_b32 s11, vcc_lo, s11
	s_delay_alu instid0(SALU_CYCLE_1)
	s_and_not1_b32 exec_lo, exec_lo, s11
	s_cbranch_execnz .LBB11_242
; %bb.243:                              ;   in Loop: Header=BB11_2 Depth=1
	s_or_b32 exec_lo, exec_lo, s11
.LBB11_244:                             ;   in Loop: Header=BB11_2 Depth=1
	s_delay_alu instid0(SALU_CYCLE_1)
	s_or_b32 exec_lo, exec_lo, s10
.LBB11_245:                             ;   in Loop: Header=BB11_2 Depth=1
	s_delay_alu instid0(SALU_CYCLE_1)
	s_or_b32 exec_lo, exec_lo, s1
	s_clause 0x1
	global_load_b64 v[24:25], v1, s[8:9] offset:40
	global_load_b128 v[20:23], v1, s[8:9]
	v_readfirstlane_b32 s10, v18
	v_readfirstlane_b32 s11, v19
	s_mov_b32 s1, exec_lo
	s_waitcnt vmcnt(1)
	v_readfirstlane_b32 s12, v24
	v_readfirstlane_b32 s13, v25
	s_delay_alu instid0(VALU_DEP_1) | instskip(NEXT) | instid1(SALU_CYCLE_1)
	s_and_b64 s[12:13], s[10:11], s[12:13]
	s_mul_i32 s14, s13, 24
	s_mul_hi_u32 s15, s12, 24
	s_mul_i32 s16, s12, 24
	s_add_i32 s15, s15, s14
	s_waitcnt vmcnt(0)
	v_add_co_u32 v24, vcc_lo, v20, s16
	v_add_co_ci_u32_e32 v25, vcc_lo, s15, v21, vcc_lo
	s_and_saveexec_b32 s14, s0
	s_cbranch_execz .LBB11_247
; %bb.246:                              ;   in Loop: Header=BB11_2 Depth=1
	v_mov_b32_e32 v0, s1
	global_store_b128 v[24:25], v[0:3], off offset:8
.LBB11_247:                             ;   in Loop: Header=BB11_2 Depth=1
	s_or_b32 exec_lo, exec_lo, s14
	s_lshl_b64 s[12:13], s[12:13], 12
	v_and_or_b32 v16, 0xffffff1f, v16, 32
	v_add_co_u32 v22, vcc_lo, v22, s12
	v_add_co_ci_u32_e32 v23, vcc_lo, s13, v23, vcc_lo
	v_dual_mov_b32 v18, v12 :: v_dual_mov_b32 v19, v1
	s_delay_alu instid0(VALU_DEP_3) | instskip(NEXT) | instid1(VALU_DEP_3)
	v_readfirstlane_b32 s12, v22
	v_readfirstlane_b32 s13, v23
	v_dual_mov_b32 v29, s7 :: v_dual_mov_b32 v28, s6
	v_dual_mov_b32 v27, s5 :: v_dual_mov_b32 v26, s4
	s_clause 0x3
	global_store_b128 v41, v[16:19], s[12:13]
	global_store_b128 v41, v[26:29], s[12:13] offset:16
	global_store_b128 v41, v[26:29], s[12:13] offset:32
	;; [unrolled: 1-line block ×3, first 2 shown]
	s_and_saveexec_b32 s1, s0
	s_cbranch_execz .LBB11_255
; %bb.248:                              ;   in Loop: Header=BB11_2 Depth=1
	s_clause 0x1
	global_load_b64 v[28:29], v1, s[8:9] offset:32 glc
	global_load_b64 v[16:17], v1, s[8:9] offset:40
	v_dual_mov_b32 v26, s10 :: v_dual_mov_b32 v27, s11
	s_waitcnt vmcnt(0)
	v_readfirstlane_b32 s12, v16
	v_readfirstlane_b32 s13, v17
	s_delay_alu instid0(VALU_DEP_1) | instskip(NEXT) | instid1(SALU_CYCLE_1)
	s_and_b64 s[12:13], s[12:13], s[10:11]
	s_mul_i32 s13, s13, 24
	s_mul_hi_u32 s14, s12, 24
	s_mul_i32 s12, s12, 24
	s_add_i32 s14, s14, s13
	v_add_co_u32 v20, vcc_lo, v20, s12
	v_add_co_ci_u32_e32 v21, vcc_lo, s14, v21, vcc_lo
	s_mov_b32 s12, exec_lo
	global_store_b64 v[20:21], v[28:29], off
	s_waitcnt_vscnt null, 0x0
	global_atomic_cmpswap_b64 v[18:19], v1, v[26:29], s[8:9] offset:32 glc
	s_waitcnt vmcnt(0)
	v_cmpx_ne_u64_e64 v[18:19], v[28:29]
	s_cbranch_execz .LBB11_251
; %bb.249:                              ;   in Loop: Header=BB11_2 Depth=1
	s_mov_b32 s13, 0
.LBB11_250:                             ;   Parent Loop BB11_2 Depth=1
                                        ; =>  This Inner Loop Header: Depth=2
	v_dual_mov_b32 v16, s10 :: v_dual_mov_b32 v17, s11
	s_sleep 1
	global_store_b64 v[20:21], v[18:19], off
	s_waitcnt_vscnt null, 0x0
	global_atomic_cmpswap_b64 v[16:17], v1, v[16:19], s[8:9] offset:32 glc
	s_waitcnt vmcnt(0)
	v_cmp_eq_u64_e32 vcc_lo, v[16:17], v[18:19]
	v_dual_mov_b32 v19, v17 :: v_dual_mov_b32 v18, v16
	s_or_b32 s13, vcc_lo, s13
	s_delay_alu instid0(SALU_CYCLE_1)
	s_and_not1_b32 exec_lo, exec_lo, s13
	s_cbranch_execnz .LBB11_250
.LBB11_251:                             ;   in Loop: Header=BB11_2 Depth=1
	s_or_b32 exec_lo, exec_lo, s12
	global_load_b64 v[16:17], v1, s[8:9] offset:16
	s_mov_b32 s13, exec_lo
	s_mov_b32 s12, exec_lo
	v_mbcnt_lo_u32_b32 v0, s13, 0
	s_delay_alu instid0(VALU_DEP_1)
	v_cmpx_eq_u32_e32 0, v0
	s_cbranch_execz .LBB11_253
; %bb.252:                              ;   in Loop: Header=BB11_2 Depth=1
	s_bcnt1_i32_b32 s13, s13
	s_delay_alu instid0(SALU_CYCLE_1)
	v_mov_b32_e32 v0, s13
	s_waitcnt vmcnt(0)
	global_atomic_add_u64 v[16:17], v[0:1], off offset:8
.LBB11_253:                             ;   in Loop: Header=BB11_2 Depth=1
	s_or_b32 exec_lo, exec_lo, s12
	s_waitcnt vmcnt(0)
	global_load_b64 v[18:19], v[16:17], off offset:16
	s_waitcnt vmcnt(0)
	v_cmp_eq_u64_e32 vcc_lo, 0, v[18:19]
	s_cbranch_vccnz .LBB11_255
; %bb.254:                              ;   in Loop: Header=BB11_2 Depth=1
	global_load_b32 v0, v[16:17], off offset:24
	s_waitcnt vmcnt(0)
	v_and_b32_e32 v12, 0xffffff, v0
	s_waitcnt_vscnt null, 0x0
	global_store_b64 v[18:19], v[0:1], off
	v_readfirstlane_b32 m0, v12
	s_sendmsg sendmsg(MSG_INTERRUPT)
.LBB11_255:                             ;   in Loop: Header=BB11_2 Depth=1
	s_or_b32 exec_lo, exec_lo, s1
	v_add_co_u32 v16, vcc_lo, v22, v41
	v_add_co_ci_u32_e32 v17, vcc_lo, 0, v23, vcc_lo
	s_branch .LBB11_259
	.p2align	6
.LBB11_256:                             ;   in Loop: Header=BB11_259 Depth=2
	s_or_b32 exec_lo, exec_lo, s1
	s_delay_alu instid0(VALU_DEP_1) | instskip(NEXT) | instid1(VALU_DEP_1)
	v_readfirstlane_b32 s1, v0
	s_cmp_eq_u32 s1, 0
	s_cbranch_scc1 .LBB11_258
; %bb.257:                              ;   in Loop: Header=BB11_259 Depth=2
	s_sleep 1
	s_cbranch_execnz .LBB11_259
	s_branch .LBB11_261
	.p2align	6
.LBB11_258:                             ;   in Loop: Header=BB11_2 Depth=1
	s_branch .LBB11_261
.LBB11_259:                             ;   Parent Loop BB11_2 Depth=1
                                        ; =>  This Inner Loop Header: Depth=2
	v_mov_b32_e32 v0, 1
	s_and_saveexec_b32 s1, s0
	s_cbranch_execz .LBB11_256
; %bb.260:                              ;   in Loop: Header=BB11_259 Depth=2
	global_load_b32 v0, v[24:25], off offset:20 glc
	s_waitcnt vmcnt(0)
	buffer_gl1_inv
	buffer_gl0_inv
	v_and_b32_e32 v0, 1, v0
	s_branch .LBB11_256
.LBB11_261:                             ;   in Loop: Header=BB11_2 Depth=1
	global_load_b64 v[16:17], v[16:17], off
	s_and_saveexec_b32 s1, s0
	s_cbranch_execz .LBB11_265
; %bb.262:                              ;   in Loop: Header=BB11_2 Depth=1
	s_clause 0x2
	global_load_b64 v[20:21], v1, s[8:9] offset:40
	global_load_b64 v[24:25], v1, s[8:9] offset:24 glc
	global_load_b64 v[22:23], v1, s[8:9]
	s_waitcnt vmcnt(2)
	v_add_co_u32 v0, vcc_lo, v20, 1
	v_add_co_ci_u32_e32 v12, vcc_lo, 0, v21, vcc_lo
	s_delay_alu instid0(VALU_DEP_2) | instskip(NEXT) | instid1(VALU_DEP_2)
	v_add_co_u32 v18, vcc_lo, v0, s10
	v_add_co_ci_u32_e32 v19, vcc_lo, s11, v12, vcc_lo
	s_delay_alu instid0(VALU_DEP_1) | instskip(SKIP_3) | instid1(VALU_DEP_2)
	v_cmp_eq_u64_e32 vcc_lo, 0, v[18:19]
	v_cndmask_b32_e32 v19, v19, v12, vcc_lo
	v_cndmask_b32_e32 v18, v18, v0, vcc_lo
	s_waitcnt vmcnt(1)
	v_dual_mov_b32 v21, v25 :: v_dual_and_b32 v0, v19, v21
	s_delay_alu instid0(VALU_DEP_2) | instskip(NEXT) | instid1(VALU_DEP_2)
	v_and_b32_e32 v12, v18, v20
	v_mul_lo_u32 v0, v0, 24
	s_delay_alu instid0(VALU_DEP_2) | instskip(SKIP_1) | instid1(VALU_DEP_2)
	v_mul_hi_u32 v20, v12, 24
	v_mul_lo_u32 v12, v12, 24
	v_add_nc_u32_e32 v0, v20, v0
	s_waitcnt vmcnt(0)
	s_delay_alu instid0(VALU_DEP_2) | instskip(SKIP_1) | instid1(VALU_DEP_3)
	v_add_co_u32 v22, vcc_lo, v22, v12
	v_mov_b32_e32 v20, v24
	v_add_co_ci_u32_e32 v23, vcc_lo, v23, v0, vcc_lo
	global_store_b64 v[22:23], v[24:25], off
	s_waitcnt_vscnt null, 0x0
	global_atomic_cmpswap_b64 v[20:21], v1, v[18:21], s[8:9] offset:24 glc
	s_waitcnt vmcnt(0)
	v_cmp_ne_u64_e32 vcc_lo, v[20:21], v[24:25]
	s_and_b32 exec_lo, exec_lo, vcc_lo
	s_cbranch_execz .LBB11_265
; %bb.263:                              ;   in Loop: Header=BB11_2 Depth=1
	s_mov_b32 s0, 0
.LBB11_264:                             ;   Parent Loop BB11_2 Depth=1
                                        ; =>  This Inner Loop Header: Depth=2
	s_sleep 1
	global_store_b64 v[22:23], v[20:21], off
	s_waitcnt_vscnt null, 0x0
	global_atomic_cmpswap_b64 v[24:25], v1, v[18:21], s[8:9] offset:24 glc
	s_waitcnt vmcnt(0)
	v_cmp_eq_u64_e32 vcc_lo, v[24:25], v[20:21]
	v_dual_mov_b32 v20, v24 :: v_dual_mov_b32 v21, v25
	s_or_b32 s0, vcc_lo, s0
	s_delay_alu instid0(SALU_CYCLE_1)
	s_and_not1_b32 exec_lo, exec_lo, s0
	s_cbranch_execnz .LBB11_264
.LBB11_265:                             ;   in Loop: Header=BB11_2 Depth=1
	s_or_b32 exec_lo, exec_lo, s1
	v_readfirstlane_b32 s0, v40
	v_mov_b32_e32 v18, 0
	v_mov_b32_e32 v19, 0
	s_delay_alu instid0(VALU_DEP_3) | instskip(NEXT) | instid1(VALU_DEP_1)
	v_cmp_eq_u32_e64 s0, s0, v40
	s_and_saveexec_b32 s1, s0
	s_cbranch_execz .LBB11_271
; %bb.266:                              ;   in Loop: Header=BB11_2 Depth=1
	global_load_b64 v[20:21], v1, s[8:9] offset:24 glc
	s_waitcnt vmcnt(0)
	buffer_gl1_inv
	buffer_gl0_inv
	s_clause 0x1
	global_load_b64 v[18:19], v1, s[8:9] offset:40
	global_load_b64 v[22:23], v1, s[8:9]
	s_mov_b32 s10, exec_lo
	s_waitcnt vmcnt(1)
	v_and_b32_e32 v0, v19, v21
	v_and_b32_e32 v12, v18, v20
	s_delay_alu instid0(VALU_DEP_2) | instskip(NEXT) | instid1(VALU_DEP_2)
	v_mul_lo_u32 v0, v0, 24
	v_mul_hi_u32 v18, v12, 24
	v_mul_lo_u32 v12, v12, 24
	s_delay_alu instid0(VALU_DEP_2) | instskip(SKIP_1) | instid1(VALU_DEP_2)
	v_add_nc_u32_e32 v0, v18, v0
	s_waitcnt vmcnt(0)
	v_add_co_u32 v18, vcc_lo, v22, v12
	s_delay_alu instid0(VALU_DEP_2)
	v_add_co_ci_u32_e32 v19, vcc_lo, v23, v0, vcc_lo
	global_load_b64 v[18:19], v[18:19], off glc
	s_waitcnt vmcnt(0)
	global_atomic_cmpswap_b64 v[18:19], v1, v[18:21], s[8:9] offset:24 glc
	s_waitcnt vmcnt(0)
	buffer_gl1_inv
	buffer_gl0_inv
	v_cmpx_ne_u64_e64 v[18:19], v[20:21]
	s_cbranch_execz .LBB11_270
; %bb.267:                              ;   in Loop: Header=BB11_2 Depth=1
	s_mov_b32 s11, 0
	.p2align	6
.LBB11_268:                             ;   Parent Loop BB11_2 Depth=1
                                        ; =>  This Inner Loop Header: Depth=2
	s_sleep 1
	s_clause 0x1
	global_load_b64 v[22:23], v1, s[8:9] offset:40
	global_load_b64 v[24:25], v1, s[8:9]
	v_dual_mov_b32 v21, v19 :: v_dual_mov_b32 v20, v18
	s_waitcnt vmcnt(1)
	s_delay_alu instid0(VALU_DEP_1) | instskip(NEXT) | instid1(VALU_DEP_2)
	v_and_b32_e32 v0, v22, v20
	v_and_b32_e32 v12, v23, v21
	s_waitcnt vmcnt(0)
	s_delay_alu instid0(VALU_DEP_2) | instskip(NEXT) | instid1(VALU_DEP_1)
	v_mad_u64_u32 v[18:19], null, v0, 24, v[24:25]
	v_mov_b32_e32 v0, v19
	s_delay_alu instid0(VALU_DEP_1) | instskip(NEXT) | instid1(VALU_DEP_1)
	v_mad_u64_u32 v[22:23], null, v12, 24, v[0:1]
	v_mov_b32_e32 v19, v22
	global_load_b64 v[18:19], v[18:19], off glc
	s_waitcnt vmcnt(0)
	global_atomic_cmpswap_b64 v[18:19], v1, v[18:21], s[8:9] offset:24 glc
	s_waitcnt vmcnt(0)
	buffer_gl1_inv
	buffer_gl0_inv
	v_cmp_eq_u64_e32 vcc_lo, v[18:19], v[20:21]
	s_or_b32 s11, vcc_lo, s11
	s_delay_alu instid0(SALU_CYCLE_1)
	s_and_not1_b32 exec_lo, exec_lo, s11
	s_cbranch_execnz .LBB11_268
; %bb.269:                              ;   in Loop: Header=BB11_2 Depth=1
	s_or_b32 exec_lo, exec_lo, s11
.LBB11_270:                             ;   in Loop: Header=BB11_2 Depth=1
	s_delay_alu instid0(SALU_CYCLE_1)
	s_or_b32 exec_lo, exec_lo, s10
.LBB11_271:                             ;   in Loop: Header=BB11_2 Depth=1
	s_delay_alu instid0(SALU_CYCLE_1)
	s_or_b32 exec_lo, exec_lo, s1
	s_clause 0x1
	global_load_b64 v[24:25], v1, s[8:9] offset:40
	global_load_b128 v[20:23], v1, s[8:9]
	v_readfirstlane_b32 s10, v18
	v_readfirstlane_b32 s11, v19
	s_mov_b32 s1, exec_lo
	s_waitcnt vmcnt(1)
	v_readfirstlane_b32 s12, v24
	v_readfirstlane_b32 s13, v25
	s_delay_alu instid0(VALU_DEP_1) | instskip(NEXT) | instid1(SALU_CYCLE_1)
	s_and_b64 s[12:13], s[10:11], s[12:13]
	s_mul_i32 s14, s13, 24
	s_mul_hi_u32 s15, s12, 24
	s_mul_i32 s16, s12, 24
	s_add_i32 s15, s15, s14
	s_waitcnt vmcnt(0)
	v_add_co_u32 v24, vcc_lo, v20, s16
	v_add_co_ci_u32_e32 v25, vcc_lo, s15, v21, vcc_lo
	s_and_saveexec_b32 s14, s0
	s_cbranch_execz .LBB11_273
; %bb.272:                              ;   in Loop: Header=BB11_2 Depth=1
	v_mov_b32_e32 v0, s1
	global_store_b128 v[24:25], v[0:3], off offset:8
.LBB11_273:                             ;   in Loop: Header=BB11_2 Depth=1
	s_or_b32 exec_lo, exec_lo, s14
	s_lshl_b64 s[12:13], s[12:13], 12
	v_and_or_b32 v16, 0xffffff1f, v16, 32
	v_add_co_u32 v22, vcc_lo, v22, s12
	v_add_co_ci_u32_e32 v23, vcc_lo, s13, v23, vcc_lo
	v_dual_mov_b32 v18, v13 :: v_dual_mov_b32 v29, s7
	v_dual_mov_b32 v19, v1 :: v_dual_mov_b32 v28, s6
	s_delay_alu instid0(VALU_DEP_4) | instskip(NEXT) | instid1(VALU_DEP_4)
	v_readfirstlane_b32 s12, v22
	v_readfirstlane_b32 s13, v23
	v_dual_mov_b32 v27, s5 :: v_dual_mov_b32 v26, s4
	s_clause 0x3
	global_store_b128 v41, v[16:19], s[12:13]
	global_store_b128 v41, v[26:29], s[12:13] offset:16
	global_store_b128 v41, v[26:29], s[12:13] offset:32
	;; [unrolled: 1-line block ×3, first 2 shown]
	s_and_saveexec_b32 s1, s0
	s_cbranch_execz .LBB11_281
; %bb.274:                              ;   in Loop: Header=BB11_2 Depth=1
	s_clause 0x1
	global_load_b64 v[28:29], v1, s[8:9] offset:32 glc
	global_load_b64 v[12:13], v1, s[8:9] offset:40
	v_dual_mov_b32 v26, s10 :: v_dual_mov_b32 v27, s11
	s_waitcnt vmcnt(0)
	v_readfirstlane_b32 s12, v12
	v_readfirstlane_b32 s13, v13
	s_delay_alu instid0(VALU_DEP_1) | instskip(NEXT) | instid1(SALU_CYCLE_1)
	s_and_b64 s[12:13], s[12:13], s[10:11]
	s_mul_i32 s13, s13, 24
	s_mul_hi_u32 s14, s12, 24
	s_mul_i32 s12, s12, 24
	s_add_i32 s14, s14, s13
	v_add_co_u32 v12, vcc_lo, v20, s12
	v_add_co_ci_u32_e32 v13, vcc_lo, s14, v21, vcc_lo
	s_mov_b32 s12, exec_lo
	global_store_b64 v[12:13], v[28:29], off
	s_waitcnt_vscnt null, 0x0
	global_atomic_cmpswap_b64 v[18:19], v1, v[26:29], s[8:9] offset:32 glc
	s_waitcnt vmcnt(0)
	v_cmpx_ne_u64_e64 v[18:19], v[28:29]
	s_cbranch_execz .LBB11_277
; %bb.275:                              ;   in Loop: Header=BB11_2 Depth=1
	s_mov_b32 s13, 0
.LBB11_276:                             ;   Parent Loop BB11_2 Depth=1
                                        ; =>  This Inner Loop Header: Depth=2
	v_dual_mov_b32 v16, s10 :: v_dual_mov_b32 v17, s11
	s_sleep 1
	global_store_b64 v[12:13], v[18:19], off
	s_waitcnt_vscnt null, 0x0
	global_atomic_cmpswap_b64 v[16:17], v1, v[16:19], s[8:9] offset:32 glc
	s_waitcnt vmcnt(0)
	v_cmp_eq_u64_e32 vcc_lo, v[16:17], v[18:19]
	v_dual_mov_b32 v19, v17 :: v_dual_mov_b32 v18, v16
	s_or_b32 s13, vcc_lo, s13
	s_delay_alu instid0(SALU_CYCLE_1)
	s_and_not1_b32 exec_lo, exec_lo, s13
	s_cbranch_execnz .LBB11_276
.LBB11_277:                             ;   in Loop: Header=BB11_2 Depth=1
	s_or_b32 exec_lo, exec_lo, s12
	global_load_b64 v[12:13], v1, s[8:9] offset:16
	s_mov_b32 s13, exec_lo
	s_mov_b32 s12, exec_lo
	v_mbcnt_lo_u32_b32 v0, s13, 0
	s_delay_alu instid0(VALU_DEP_1)
	v_cmpx_eq_u32_e32 0, v0
	s_cbranch_execz .LBB11_279
; %bb.278:                              ;   in Loop: Header=BB11_2 Depth=1
	s_bcnt1_i32_b32 s13, s13
	s_delay_alu instid0(SALU_CYCLE_1)
	v_mov_b32_e32 v0, s13
	s_waitcnt vmcnt(0)
	global_atomic_add_u64 v[12:13], v[0:1], off offset:8
.LBB11_279:                             ;   in Loop: Header=BB11_2 Depth=1
	s_or_b32 exec_lo, exec_lo, s12
	s_waitcnt vmcnt(0)
	global_load_b64 v[16:17], v[12:13], off offset:16
	s_waitcnt vmcnt(0)
	v_cmp_eq_u64_e32 vcc_lo, 0, v[16:17]
	s_cbranch_vccnz .LBB11_281
; %bb.280:                              ;   in Loop: Header=BB11_2 Depth=1
	global_load_b32 v0, v[12:13], off offset:24
	s_waitcnt vmcnt(0)
	v_and_b32_e32 v12, 0xffffff, v0
	s_waitcnt_vscnt null, 0x0
	global_store_b64 v[16:17], v[0:1], off
	v_readfirstlane_b32 m0, v12
	s_sendmsg sendmsg(MSG_INTERRUPT)
.LBB11_281:                             ;   in Loop: Header=BB11_2 Depth=1
	s_or_b32 exec_lo, exec_lo, s1
	v_add_co_u32 v12, vcc_lo, v22, v41
	v_add_co_ci_u32_e32 v13, vcc_lo, 0, v23, vcc_lo
	s_branch .LBB11_285
	.p2align	6
.LBB11_282:                             ;   in Loop: Header=BB11_285 Depth=2
	s_or_b32 exec_lo, exec_lo, s1
	s_delay_alu instid0(VALU_DEP_1) | instskip(NEXT) | instid1(VALU_DEP_1)
	v_readfirstlane_b32 s1, v0
	s_cmp_eq_u32 s1, 0
	s_cbranch_scc1 .LBB11_284
; %bb.283:                              ;   in Loop: Header=BB11_285 Depth=2
	s_sleep 1
	s_cbranch_execnz .LBB11_285
	s_branch .LBB11_287
	.p2align	6
.LBB11_284:                             ;   in Loop: Header=BB11_2 Depth=1
	s_branch .LBB11_287
.LBB11_285:                             ;   Parent Loop BB11_2 Depth=1
                                        ; =>  This Inner Loop Header: Depth=2
	v_mov_b32_e32 v0, 1
	s_and_saveexec_b32 s1, s0
	s_cbranch_execz .LBB11_282
; %bb.286:                              ;   in Loop: Header=BB11_285 Depth=2
	global_load_b32 v0, v[24:25], off offset:20 glc
	s_waitcnt vmcnt(0)
	buffer_gl1_inv
	buffer_gl0_inv
	v_and_b32_e32 v0, 1, v0
	s_branch .LBB11_282
.LBB11_287:                             ;   in Loop: Header=BB11_2 Depth=1
	global_load_b64 v[16:17], v[12:13], off
	s_and_saveexec_b32 s1, s0
	s_cbranch_execz .LBB11_291
; %bb.288:                              ;   in Loop: Header=BB11_2 Depth=1
	s_clause 0x2
	global_load_b64 v[12:13], v1, s[8:9] offset:40
	global_load_b64 v[22:23], v1, s[8:9] offset:24 glc
	global_load_b64 v[20:21], v1, s[8:9]
	s_waitcnt vmcnt(2)
	v_add_co_u32 v0, vcc_lo, v12, 1
	v_add_co_ci_u32_e32 v24, vcc_lo, 0, v13, vcc_lo
	s_delay_alu instid0(VALU_DEP_2) | instskip(NEXT) | instid1(VALU_DEP_2)
	v_add_co_u32 v18, vcc_lo, v0, s10
	v_add_co_ci_u32_e32 v19, vcc_lo, s11, v24, vcc_lo
	s_delay_alu instid0(VALU_DEP_1) | instskip(SKIP_2) | instid1(VALU_DEP_2)
	v_cmp_eq_u64_e32 vcc_lo, 0, v[18:19]
	v_cndmask_b32_e32 v19, v19, v24, vcc_lo
	v_cndmask_b32_e32 v18, v18, v0, vcc_lo
	v_and_b32_e32 v0, v19, v13
	s_delay_alu instid0(VALU_DEP_2) | instskip(NEXT) | instid1(VALU_DEP_2)
	v_and_b32_e32 v12, v18, v12
	v_mul_lo_u32 v0, v0, 24
	s_delay_alu instid0(VALU_DEP_2) | instskip(SKIP_1) | instid1(VALU_DEP_2)
	v_mul_hi_u32 v13, v12, 24
	v_mul_lo_u32 v12, v12, 24
	v_add_nc_u32_e32 v0, v13, v0
	s_waitcnt vmcnt(0)
	s_delay_alu instid0(VALU_DEP_2) | instskip(SKIP_1) | instid1(VALU_DEP_3)
	v_add_co_u32 v12, vcc_lo, v20, v12
	v_mov_b32_e32 v20, v22
	v_add_co_ci_u32_e32 v13, vcc_lo, v21, v0, vcc_lo
	v_mov_b32_e32 v21, v23
	global_store_b64 v[12:13], v[22:23], off
	s_waitcnt_vscnt null, 0x0
	global_atomic_cmpswap_b64 v[20:21], v1, v[18:21], s[8:9] offset:24 glc
	s_waitcnt vmcnt(0)
	v_cmp_ne_u64_e32 vcc_lo, v[20:21], v[22:23]
	s_and_b32 exec_lo, exec_lo, vcc_lo
	s_cbranch_execz .LBB11_291
; %bb.289:                              ;   in Loop: Header=BB11_2 Depth=1
	s_mov_b32 s0, 0
.LBB11_290:                             ;   Parent Loop BB11_2 Depth=1
                                        ; =>  This Inner Loop Header: Depth=2
	s_sleep 1
	global_store_b64 v[12:13], v[20:21], off
	s_waitcnt_vscnt null, 0x0
	global_atomic_cmpswap_b64 v[22:23], v1, v[18:21], s[8:9] offset:24 glc
	s_waitcnt vmcnt(0)
	v_cmp_eq_u64_e32 vcc_lo, v[22:23], v[20:21]
	v_dual_mov_b32 v20, v22 :: v_dual_mov_b32 v21, v23
	s_or_b32 s0, vcc_lo, s0
	s_delay_alu instid0(SALU_CYCLE_1)
	s_and_not1_b32 exec_lo, exec_lo, s0
	s_cbranch_execnz .LBB11_290
.LBB11_291:                             ;   in Loop: Header=BB11_2 Depth=1
	s_or_b32 exec_lo, exec_lo, s1
	v_readfirstlane_b32 s0, v40
	v_mov_b32_e32 v12, 0
	v_mov_b32_e32 v13, 0
	s_delay_alu instid0(VALU_DEP_3) | instskip(NEXT) | instid1(VALU_DEP_1)
	v_cmp_eq_u32_e64 s0, s0, v40
	s_and_saveexec_b32 s1, s0
	s_cbranch_execz .LBB11_297
; %bb.292:                              ;   in Loop: Header=BB11_2 Depth=1
	global_load_b64 v[20:21], v1, s[8:9] offset:24 glc
	s_waitcnt vmcnt(0)
	buffer_gl1_inv
	buffer_gl0_inv
	s_clause 0x1
	global_load_b64 v[12:13], v1, s[8:9] offset:40
	global_load_b64 v[18:19], v1, s[8:9]
	s_mov_b32 s10, exec_lo
	s_waitcnt vmcnt(1)
	v_and_b32_e32 v0, v13, v21
	v_and_b32_e32 v12, v12, v20
	s_delay_alu instid0(VALU_DEP_2) | instskip(NEXT) | instid1(VALU_DEP_2)
	v_mul_lo_u32 v0, v0, 24
	v_mul_hi_u32 v13, v12, 24
	v_mul_lo_u32 v12, v12, 24
	s_delay_alu instid0(VALU_DEP_2) | instskip(SKIP_1) | instid1(VALU_DEP_2)
	v_add_nc_u32_e32 v0, v13, v0
	s_waitcnt vmcnt(0)
	v_add_co_u32 v12, vcc_lo, v18, v12
	s_delay_alu instid0(VALU_DEP_2)
	v_add_co_ci_u32_e32 v13, vcc_lo, v19, v0, vcc_lo
	global_load_b64 v[18:19], v[12:13], off glc
	s_waitcnt vmcnt(0)
	global_atomic_cmpswap_b64 v[12:13], v1, v[18:21], s[8:9] offset:24 glc
	s_waitcnt vmcnt(0)
	buffer_gl1_inv
	buffer_gl0_inv
	v_cmpx_ne_u64_e64 v[12:13], v[20:21]
	s_cbranch_execz .LBB11_296
; %bb.293:                              ;   in Loop: Header=BB11_2 Depth=1
	s_mov_b32 s11, 0
	.p2align	6
.LBB11_294:                             ;   Parent Loop BB11_2 Depth=1
                                        ; =>  This Inner Loop Header: Depth=2
	s_sleep 1
	s_clause 0x1
	global_load_b64 v[18:19], v1, s[8:9] offset:40
	global_load_b64 v[22:23], v1, s[8:9]
	v_dual_mov_b32 v21, v13 :: v_dual_mov_b32 v20, v12
	s_waitcnt vmcnt(1)
	s_delay_alu instid0(VALU_DEP_1) | instskip(SKIP_1) | instid1(VALU_DEP_1)
	v_and_b32_e32 v0, v18, v20
	s_waitcnt vmcnt(0)
	v_mad_u64_u32 v[12:13], null, v0, 24, v[22:23]
	v_and_b32_e32 v22, v19, v21
	s_delay_alu instid0(VALU_DEP_2) | instskip(NEXT) | instid1(VALU_DEP_1)
	v_mov_b32_e32 v0, v13
	v_mad_u64_u32 v[18:19], null, v22, 24, v[0:1]
	s_delay_alu instid0(VALU_DEP_1)
	v_mov_b32_e32 v13, v18
	global_load_b64 v[18:19], v[12:13], off glc
	s_waitcnt vmcnt(0)
	global_atomic_cmpswap_b64 v[12:13], v1, v[18:21], s[8:9] offset:24 glc
	s_waitcnt vmcnt(0)
	buffer_gl1_inv
	buffer_gl0_inv
	v_cmp_eq_u64_e32 vcc_lo, v[12:13], v[20:21]
	s_or_b32 s11, vcc_lo, s11
	s_delay_alu instid0(SALU_CYCLE_1)
	s_and_not1_b32 exec_lo, exec_lo, s11
	s_cbranch_execnz .LBB11_294
; %bb.295:                              ;   in Loop: Header=BB11_2 Depth=1
	s_or_b32 exec_lo, exec_lo, s11
.LBB11_296:                             ;   in Loop: Header=BB11_2 Depth=1
	s_delay_alu instid0(SALU_CYCLE_1)
	s_or_b32 exec_lo, exec_lo, s10
.LBB11_297:                             ;   in Loop: Header=BB11_2 Depth=1
	s_delay_alu instid0(SALU_CYCLE_1)
	s_or_b32 exec_lo, exec_lo, s1
	s_clause 0x1
	global_load_b64 v[18:19], v1, s[8:9] offset:40
	global_load_b128 v[20:23], v1, s[8:9]
	v_readfirstlane_b32 s10, v12
	v_readfirstlane_b32 s11, v13
	s_mov_b32 s1, exec_lo
	s_waitcnt vmcnt(1)
	v_readfirstlane_b32 s12, v18
	v_readfirstlane_b32 s13, v19
	s_delay_alu instid0(VALU_DEP_1) | instskip(NEXT) | instid1(SALU_CYCLE_1)
	s_and_b64 s[12:13], s[10:11], s[12:13]
	s_mul_i32 s14, s13, 24
	s_mul_hi_u32 s15, s12, 24
	s_mul_i32 s16, s12, 24
	s_add_i32 s15, s15, s14
	s_waitcnt vmcnt(0)
	v_add_co_u32 v12, vcc_lo, v20, s16
	v_add_co_ci_u32_e32 v13, vcc_lo, s15, v21, vcc_lo
	s_and_saveexec_b32 s14, s0
	s_cbranch_execz .LBB11_299
; %bb.298:                              ;   in Loop: Header=BB11_2 Depth=1
	v_mov_b32_e32 v0, s1
	global_store_b128 v[12:13], v[0:3], off offset:8
.LBB11_299:                             ;   in Loop: Header=BB11_2 Depth=1
	s_or_b32 exec_lo, exec_lo, s14
	s_lshl_b64 s[12:13], s[12:13], 12
	v_and_or_b32 v16, 0xffffff1f, v16, 32
	v_add_co_u32 v22, vcc_lo, v22, s12
	v_add_co_ci_u32_e32 v23, vcc_lo, s13, v23, vcc_lo
	v_dual_mov_b32 v18, v14 :: v_dual_mov_b32 v19, v1
	s_delay_alu instid0(VALU_DEP_3) | instskip(NEXT) | instid1(VALU_DEP_3)
	v_readfirstlane_b32 s12, v22
	v_readfirstlane_b32 s13, v23
	v_dual_mov_b32 v27, s7 :: v_dual_mov_b32 v26, s6
	v_dual_mov_b32 v25, s5 :: v_dual_mov_b32 v24, s4
	s_clause 0x3
	global_store_b128 v41, v[16:19], s[12:13]
	global_store_b128 v41, v[24:27], s[12:13] offset:16
	global_store_b128 v41, v[24:27], s[12:13] offset:32
	;; [unrolled: 1-line block ×3, first 2 shown]
	s_and_saveexec_b32 s1, s0
	s_cbranch_execz .LBB11_307
; %bb.300:                              ;   in Loop: Header=BB11_2 Depth=1
	s_clause 0x1
	global_load_b64 v[26:27], v1, s[8:9] offset:32 glc
	global_load_b64 v[16:17], v1, s[8:9] offset:40
	v_dual_mov_b32 v24, s10 :: v_dual_mov_b32 v25, s11
	s_waitcnt vmcnt(0)
	v_readfirstlane_b32 s12, v16
	v_readfirstlane_b32 s13, v17
	s_delay_alu instid0(VALU_DEP_1) | instskip(NEXT) | instid1(SALU_CYCLE_1)
	s_and_b64 s[12:13], s[12:13], s[10:11]
	s_mul_i32 s13, s13, 24
	s_mul_hi_u32 s14, s12, 24
	s_mul_i32 s12, s12, 24
	s_add_i32 s14, s14, s13
	v_add_co_u32 v20, vcc_lo, v20, s12
	v_add_co_ci_u32_e32 v21, vcc_lo, s14, v21, vcc_lo
	s_mov_b32 s12, exec_lo
	global_store_b64 v[20:21], v[26:27], off
	s_waitcnt_vscnt null, 0x0
	global_atomic_cmpswap_b64 v[18:19], v1, v[24:27], s[8:9] offset:32 glc
	s_waitcnt vmcnt(0)
	v_cmpx_ne_u64_e64 v[18:19], v[26:27]
	s_cbranch_execz .LBB11_303
; %bb.301:                              ;   in Loop: Header=BB11_2 Depth=1
	s_mov_b32 s13, 0
.LBB11_302:                             ;   Parent Loop BB11_2 Depth=1
                                        ; =>  This Inner Loop Header: Depth=2
	v_dual_mov_b32 v16, s10 :: v_dual_mov_b32 v17, s11
	s_sleep 1
	global_store_b64 v[20:21], v[18:19], off
	s_waitcnt_vscnt null, 0x0
	global_atomic_cmpswap_b64 v[16:17], v1, v[16:19], s[8:9] offset:32 glc
	s_waitcnt vmcnt(0)
	v_cmp_eq_u64_e32 vcc_lo, v[16:17], v[18:19]
	v_dual_mov_b32 v19, v17 :: v_dual_mov_b32 v18, v16
	s_or_b32 s13, vcc_lo, s13
	s_delay_alu instid0(SALU_CYCLE_1)
	s_and_not1_b32 exec_lo, exec_lo, s13
	s_cbranch_execnz .LBB11_302
.LBB11_303:                             ;   in Loop: Header=BB11_2 Depth=1
	s_or_b32 exec_lo, exec_lo, s12
	global_load_b64 v[16:17], v1, s[8:9] offset:16
	s_mov_b32 s13, exec_lo
	s_mov_b32 s12, exec_lo
	v_mbcnt_lo_u32_b32 v0, s13, 0
	s_delay_alu instid0(VALU_DEP_1)
	v_cmpx_eq_u32_e32 0, v0
	s_cbranch_execz .LBB11_305
; %bb.304:                              ;   in Loop: Header=BB11_2 Depth=1
	s_bcnt1_i32_b32 s13, s13
	s_delay_alu instid0(SALU_CYCLE_1)
	v_mov_b32_e32 v0, s13
	s_waitcnt vmcnt(0)
	global_atomic_add_u64 v[16:17], v[0:1], off offset:8
.LBB11_305:                             ;   in Loop: Header=BB11_2 Depth=1
	s_or_b32 exec_lo, exec_lo, s12
	s_waitcnt vmcnt(0)
	global_load_b64 v[18:19], v[16:17], off offset:16
	s_waitcnt vmcnt(0)
	v_cmp_eq_u64_e32 vcc_lo, 0, v[18:19]
	s_cbranch_vccnz .LBB11_307
; %bb.306:                              ;   in Loop: Header=BB11_2 Depth=1
	global_load_b32 v0, v[16:17], off offset:24
	s_waitcnt vmcnt(0)
	v_and_b32_e32 v14, 0xffffff, v0
	s_waitcnt_vscnt null, 0x0
	global_store_b64 v[18:19], v[0:1], off
	v_readfirstlane_b32 m0, v14
	s_sendmsg sendmsg(MSG_INTERRUPT)
.LBB11_307:                             ;   in Loop: Header=BB11_2 Depth=1
	s_or_b32 exec_lo, exec_lo, s1
	v_add_co_u32 v16, vcc_lo, v22, v41
	v_add_co_ci_u32_e32 v17, vcc_lo, 0, v23, vcc_lo
	s_branch .LBB11_311
	.p2align	6
.LBB11_308:                             ;   in Loop: Header=BB11_311 Depth=2
	s_or_b32 exec_lo, exec_lo, s1
	s_delay_alu instid0(VALU_DEP_1) | instskip(NEXT) | instid1(VALU_DEP_1)
	v_readfirstlane_b32 s1, v0
	s_cmp_eq_u32 s1, 0
	s_cbranch_scc1 .LBB11_310
; %bb.309:                              ;   in Loop: Header=BB11_311 Depth=2
	s_sleep 1
	s_cbranch_execnz .LBB11_311
	s_branch .LBB11_313
	.p2align	6
.LBB11_310:                             ;   in Loop: Header=BB11_2 Depth=1
	s_branch .LBB11_313
.LBB11_311:                             ;   Parent Loop BB11_2 Depth=1
                                        ; =>  This Inner Loop Header: Depth=2
	v_mov_b32_e32 v0, 1
	s_and_saveexec_b32 s1, s0
	s_cbranch_execz .LBB11_308
; %bb.312:                              ;   in Loop: Header=BB11_311 Depth=2
	global_load_b32 v0, v[12:13], off offset:20 glc
	s_waitcnt vmcnt(0)
	buffer_gl1_inv
	buffer_gl0_inv
	v_and_b32_e32 v0, 1, v0
	s_branch .LBB11_308
.LBB11_313:                             ;   in Loop: Header=BB11_2 Depth=1
	global_load_b64 v[12:13], v[16:17], off
	s_and_saveexec_b32 s1, s0
	s_cbranch_execz .LBB11_317
; %bb.314:                              ;   in Loop: Header=BB11_2 Depth=1
	s_clause 0x2
	global_load_b64 v[18:19], v1, s[8:9] offset:40
	global_load_b64 v[22:23], v1, s[8:9] offset:24 glc
	global_load_b64 v[20:21], v1, s[8:9]
	s_waitcnt vmcnt(2)
	v_add_co_u32 v0, vcc_lo, v18, 1
	v_add_co_ci_u32_e32 v14, vcc_lo, 0, v19, vcc_lo
	s_delay_alu instid0(VALU_DEP_2) | instskip(NEXT) | instid1(VALU_DEP_2)
	v_add_co_u32 v16, vcc_lo, v0, s10
	v_add_co_ci_u32_e32 v17, vcc_lo, s11, v14, vcc_lo
	s_delay_alu instid0(VALU_DEP_1) | instskip(SKIP_2) | instid1(VALU_DEP_1)
	v_cmp_eq_u64_e32 vcc_lo, 0, v[16:17]
	v_dual_cndmask_b32 v17, v17, v14 :: v_dual_cndmask_b32 v16, v16, v0
	s_waitcnt vmcnt(1)
	v_dual_mov_b32 v19, v23 :: v_dual_and_b32 v0, v17, v19
	s_delay_alu instid0(VALU_DEP_2) | instskip(NEXT) | instid1(VALU_DEP_2)
	v_and_b32_e32 v14, v16, v18
	v_mul_lo_u32 v0, v0, 24
	s_delay_alu instid0(VALU_DEP_2) | instskip(SKIP_1) | instid1(VALU_DEP_2)
	v_mul_hi_u32 v18, v14, 24
	v_mul_lo_u32 v14, v14, 24
	v_add_nc_u32_e32 v0, v18, v0
	s_waitcnt vmcnt(0)
	s_delay_alu instid0(VALU_DEP_2) | instskip(SKIP_1) | instid1(VALU_DEP_3)
	v_add_co_u32 v20, vcc_lo, v20, v14
	v_mov_b32_e32 v18, v22
	v_add_co_ci_u32_e32 v21, vcc_lo, v21, v0, vcc_lo
	global_store_b64 v[20:21], v[22:23], off
	s_waitcnt_vscnt null, 0x0
	global_atomic_cmpswap_b64 v[18:19], v1, v[16:19], s[8:9] offset:24 glc
	s_waitcnt vmcnt(0)
	v_cmp_ne_u64_e32 vcc_lo, v[18:19], v[22:23]
	s_and_b32 exec_lo, exec_lo, vcc_lo
	s_cbranch_execz .LBB11_317
; %bb.315:                              ;   in Loop: Header=BB11_2 Depth=1
	s_mov_b32 s0, 0
.LBB11_316:                             ;   Parent Loop BB11_2 Depth=1
                                        ; =>  This Inner Loop Header: Depth=2
	s_sleep 1
	global_store_b64 v[20:21], v[18:19], off
	s_waitcnt_vscnt null, 0x0
	global_atomic_cmpswap_b64 v[22:23], v1, v[16:19], s[8:9] offset:24 glc
	s_waitcnt vmcnt(0)
	v_cmp_eq_u64_e32 vcc_lo, v[22:23], v[18:19]
	v_dual_mov_b32 v18, v22 :: v_dual_mov_b32 v19, v23
	s_or_b32 s0, vcc_lo, s0
	s_delay_alu instid0(SALU_CYCLE_1)
	s_and_not1_b32 exec_lo, exec_lo, s0
	s_cbranch_execnz .LBB11_316
.LBB11_317:                             ;   in Loop: Header=BB11_2 Depth=1
	s_or_b32 exec_lo, exec_lo, s1
	v_readfirstlane_b32 s0, v40
	v_mov_b32_e32 v20, 0
	v_mov_b32_e32 v21, 0
	s_delay_alu instid0(VALU_DEP_3) | instskip(NEXT) | instid1(VALU_DEP_1)
	v_cmp_eq_u32_e64 s0, s0, v40
	s_and_saveexec_b32 s1, s0
	s_cbranch_execz .LBB11_323
; %bb.318:                              ;   in Loop: Header=BB11_2 Depth=1
	global_load_b64 v[18:19], v1, s[8:9] offset:24 glc
	s_waitcnt vmcnt(0)
	buffer_gl1_inv
	buffer_gl0_inv
	s_clause 0x1
	global_load_b64 v[16:17], v1, s[8:9] offset:40
	global_load_b64 v[20:21], v1, s[8:9]
	s_mov_b32 s10, exec_lo
	s_waitcnt vmcnt(1)
	v_and_b32_e32 v0, v17, v19
	v_and_b32_e32 v14, v16, v18
	s_delay_alu instid0(VALU_DEP_2) | instskip(NEXT) | instid1(VALU_DEP_2)
	v_mul_lo_u32 v0, v0, 24
	v_mul_hi_u32 v16, v14, 24
	v_mul_lo_u32 v14, v14, 24
	s_delay_alu instid0(VALU_DEP_2) | instskip(SKIP_1) | instid1(VALU_DEP_2)
	v_add_nc_u32_e32 v0, v16, v0
	s_waitcnt vmcnt(0)
	v_add_co_u32 v16, vcc_lo, v20, v14
	s_delay_alu instid0(VALU_DEP_2)
	v_add_co_ci_u32_e32 v17, vcc_lo, v21, v0, vcc_lo
	global_load_b64 v[16:17], v[16:17], off glc
	s_waitcnt vmcnt(0)
	global_atomic_cmpswap_b64 v[20:21], v1, v[16:19], s[8:9] offset:24 glc
	s_waitcnt vmcnt(0)
	buffer_gl1_inv
	buffer_gl0_inv
	v_cmpx_ne_u64_e64 v[20:21], v[18:19]
	s_cbranch_execz .LBB11_322
; %bb.319:                              ;   in Loop: Header=BB11_2 Depth=1
	s_mov_b32 s11, 0
	.p2align	6
.LBB11_320:                             ;   Parent Loop BB11_2 Depth=1
                                        ; =>  This Inner Loop Header: Depth=2
	s_sleep 1
	s_clause 0x1
	global_load_b64 v[16:17], v1, s[8:9] offset:40
	global_load_b64 v[22:23], v1, s[8:9]
	v_dual_mov_b32 v18, v20 :: v_dual_mov_b32 v19, v21
	s_waitcnt vmcnt(1)
	s_delay_alu instid0(VALU_DEP_1) | instskip(NEXT) | instid1(VALU_DEP_2)
	v_and_b32_e32 v0, v16, v18
	v_and_b32_e32 v14, v17, v19
	s_waitcnt vmcnt(0)
	s_delay_alu instid0(VALU_DEP_2) | instskip(NEXT) | instid1(VALU_DEP_1)
	v_mad_u64_u32 v[20:21], null, v0, 24, v[22:23]
	v_mov_b32_e32 v0, v21
	s_delay_alu instid0(VALU_DEP_1) | instskip(NEXT) | instid1(VALU_DEP_1)
	v_mad_u64_u32 v[16:17], null, v14, 24, v[0:1]
	v_mov_b32_e32 v21, v16
	global_load_b64 v[16:17], v[20:21], off glc
	s_waitcnt vmcnt(0)
	global_atomic_cmpswap_b64 v[20:21], v1, v[16:19], s[8:9] offset:24 glc
	s_waitcnt vmcnt(0)
	buffer_gl1_inv
	buffer_gl0_inv
	v_cmp_eq_u64_e32 vcc_lo, v[20:21], v[18:19]
	s_or_b32 s11, vcc_lo, s11
	s_delay_alu instid0(SALU_CYCLE_1)
	s_and_not1_b32 exec_lo, exec_lo, s11
	s_cbranch_execnz .LBB11_320
; %bb.321:                              ;   in Loop: Header=BB11_2 Depth=1
	s_or_b32 exec_lo, exec_lo, s11
.LBB11_322:                             ;   in Loop: Header=BB11_2 Depth=1
	s_delay_alu instid0(SALU_CYCLE_1)
	s_or_b32 exec_lo, exec_lo, s10
.LBB11_323:                             ;   in Loop: Header=BB11_2 Depth=1
	s_delay_alu instid0(SALU_CYCLE_1)
	s_or_b32 exec_lo, exec_lo, s1
	s_clause 0x1
	global_load_b64 v[22:23], v1, s[8:9] offset:40
	global_load_b128 v[16:19], v1, s[8:9]
	v_readfirstlane_b32 s10, v20
	v_readfirstlane_b32 s11, v21
	s_mov_b32 s1, exec_lo
	s_waitcnt vmcnt(1)
	v_readfirstlane_b32 s12, v22
	v_readfirstlane_b32 s13, v23
	s_delay_alu instid0(VALU_DEP_1) | instskip(NEXT) | instid1(SALU_CYCLE_1)
	s_and_b64 s[12:13], s[10:11], s[12:13]
	s_mul_i32 s14, s13, 24
	s_mul_hi_u32 s15, s12, 24
	s_mul_i32 s16, s12, 24
	s_add_i32 s15, s15, s14
	s_waitcnt vmcnt(0)
	v_add_co_u32 v20, vcc_lo, v16, s16
	v_add_co_ci_u32_e32 v21, vcc_lo, s15, v17, vcc_lo
	s_and_saveexec_b32 s14, s0
	s_cbranch_execz .LBB11_325
; %bb.324:                              ;   in Loop: Header=BB11_2 Depth=1
	v_mov_b32_e32 v0, s1
	global_store_b128 v[20:21], v[0:3], off offset:8
.LBB11_325:                             ;   in Loop: Header=BB11_2 Depth=1
	s_or_b32 exec_lo, exec_lo, s14
	s_lshl_b64 s[12:13], s[12:13], 12
	v_and_or_b32 v12, 0xffffff1d, v12, 34
	v_add_co_u32 v0, vcc_lo, v18, s12
	v_add_co_ci_u32_e32 v18, vcc_lo, s13, v19, vcc_lo
	v_dual_mov_b32 v14, v15 :: v_dual_mov_b32 v15, v1
	s_delay_alu instid0(VALU_DEP_3) | instskip(NEXT) | instid1(VALU_DEP_3)
	v_readfirstlane_b32 s12, v0
	v_readfirstlane_b32 s13, v18
	v_dual_mov_b32 v25, s7 :: v_dual_mov_b32 v24, s6
	v_dual_mov_b32 v23, s5 :: v_dual_mov_b32 v22, s4
	s_clause 0x3
	global_store_b128 v41, v[12:15], s[12:13]
	global_store_b128 v41, v[22:25], s[12:13] offset:16
	global_store_b128 v41, v[22:25], s[12:13] offset:32
	;; [unrolled: 1-line block ×3, first 2 shown]
	s_and_saveexec_b32 s1, s0
	s_cbranch_execz .LBB11_333
; %bb.326:                              ;   in Loop: Header=BB11_2 Depth=1
	s_clause 0x1
	global_load_b64 v[24:25], v1, s[8:9] offset:32 glc
	global_load_b64 v[12:13], v1, s[8:9] offset:40
	v_dual_mov_b32 v22, s10 :: v_dual_mov_b32 v23, s11
	s_waitcnt vmcnt(0)
	v_readfirstlane_b32 s12, v12
	v_readfirstlane_b32 s13, v13
	s_delay_alu instid0(VALU_DEP_1) | instskip(NEXT) | instid1(SALU_CYCLE_1)
	s_and_b64 s[12:13], s[12:13], s[10:11]
	s_mul_i32 s13, s13, 24
	s_mul_hi_u32 s14, s12, 24
	s_mul_i32 s12, s12, 24
	s_add_i32 s14, s14, s13
	v_add_co_u32 v16, vcc_lo, v16, s12
	v_add_co_ci_u32_e32 v17, vcc_lo, s14, v17, vcc_lo
	s_mov_b32 s12, exec_lo
	global_store_b64 v[16:17], v[24:25], off
	s_waitcnt_vscnt null, 0x0
	global_atomic_cmpswap_b64 v[14:15], v1, v[22:25], s[8:9] offset:32 glc
	s_waitcnt vmcnt(0)
	v_cmpx_ne_u64_e64 v[14:15], v[24:25]
	s_cbranch_execz .LBB11_329
; %bb.327:                              ;   in Loop: Header=BB11_2 Depth=1
	s_mov_b32 s13, 0
.LBB11_328:                             ;   Parent Loop BB11_2 Depth=1
                                        ; =>  This Inner Loop Header: Depth=2
	v_dual_mov_b32 v12, s10 :: v_dual_mov_b32 v13, s11
	s_sleep 1
	global_store_b64 v[16:17], v[14:15], off
	s_waitcnt_vscnt null, 0x0
	global_atomic_cmpswap_b64 v[12:13], v1, v[12:15], s[8:9] offset:32 glc
	s_waitcnt vmcnt(0)
	v_cmp_eq_u64_e32 vcc_lo, v[12:13], v[14:15]
	v_dual_mov_b32 v15, v13 :: v_dual_mov_b32 v14, v12
	s_or_b32 s13, vcc_lo, s13
	s_delay_alu instid0(SALU_CYCLE_1)
	s_and_not1_b32 exec_lo, exec_lo, s13
	s_cbranch_execnz .LBB11_328
.LBB11_329:                             ;   in Loop: Header=BB11_2 Depth=1
	s_or_b32 exec_lo, exec_lo, s12
	global_load_b64 v[12:13], v1, s[8:9] offset:16
	s_mov_b32 s13, exec_lo
	s_mov_b32 s12, exec_lo
	v_mbcnt_lo_u32_b32 v0, s13, 0
	s_delay_alu instid0(VALU_DEP_1)
	v_cmpx_eq_u32_e32 0, v0
	s_cbranch_execz .LBB11_331
; %bb.330:                              ;   in Loop: Header=BB11_2 Depth=1
	s_bcnt1_i32_b32 s13, s13
	s_delay_alu instid0(SALU_CYCLE_1)
	v_mov_b32_e32 v0, s13
	s_waitcnt vmcnt(0)
	global_atomic_add_u64 v[12:13], v[0:1], off offset:8
.LBB11_331:                             ;   in Loop: Header=BB11_2 Depth=1
	s_or_b32 exec_lo, exec_lo, s12
	s_waitcnt vmcnt(0)
	global_load_b64 v[14:15], v[12:13], off offset:16
	s_waitcnt vmcnt(0)
	v_cmp_eq_u64_e32 vcc_lo, 0, v[14:15]
	s_cbranch_vccnz .LBB11_333
; %bb.332:                              ;   in Loop: Header=BB11_2 Depth=1
	global_load_b32 v0, v[12:13], off offset:24
	s_waitcnt vmcnt(0)
	v_and_b32_e32 v12, 0xffffff, v0
	s_waitcnt_vscnt null, 0x0
	global_store_b64 v[14:15], v[0:1], off
	v_readfirstlane_b32 m0, v12
	s_sendmsg sendmsg(MSG_INTERRUPT)
.LBB11_333:                             ;   in Loop: Header=BB11_2 Depth=1
	s_or_b32 exec_lo, exec_lo, s1
	s_branch .LBB11_337
	.p2align	6
.LBB11_334:                             ;   in Loop: Header=BB11_337 Depth=2
	s_or_b32 exec_lo, exec_lo, s1
	s_delay_alu instid0(VALU_DEP_1) | instskip(NEXT) | instid1(VALU_DEP_1)
	v_readfirstlane_b32 s1, v0
	s_cmp_eq_u32 s1, 0
	s_cbranch_scc1 .LBB11_336
; %bb.335:                              ;   in Loop: Header=BB11_337 Depth=2
	s_sleep 1
	s_cbranch_execnz .LBB11_337
	s_branch .LBB11_339
	.p2align	6
.LBB11_336:                             ;   in Loop: Header=BB11_2 Depth=1
	s_branch .LBB11_339
.LBB11_337:                             ;   Parent Loop BB11_2 Depth=1
                                        ; =>  This Inner Loop Header: Depth=2
	v_mov_b32_e32 v0, 1
	s_and_saveexec_b32 s1, s0
	s_cbranch_execz .LBB11_334
; %bb.338:                              ;   in Loop: Header=BB11_337 Depth=2
	global_load_b32 v0, v[20:21], off offset:20 glc
	s_waitcnt vmcnt(0)
	buffer_gl1_inv
	buffer_gl0_inv
	v_and_b32_e32 v0, 1, v0
	s_branch .LBB11_334
.LBB11_339:                             ;   in Loop: Header=BB11_2 Depth=1
	s_and_saveexec_b32 s1, s0
	s_cbranch_execz .LBB11_1
; %bb.340:                              ;   in Loop: Header=BB11_2 Depth=1
	s_clause 0x2
	global_load_b64 v[14:15], v1, s[8:9] offset:40
	global_load_b64 v[18:19], v1, s[8:9] offset:24 glc
	global_load_b64 v[16:17], v1, s[8:9]
	s_waitcnt vmcnt(2)
	v_add_co_u32 v0, vcc_lo, v14, 1
	v_add_co_ci_u32_e32 v20, vcc_lo, 0, v15, vcc_lo
	s_delay_alu instid0(VALU_DEP_2) | instskip(NEXT) | instid1(VALU_DEP_2)
	v_add_co_u32 v12, vcc_lo, v0, s10
	v_add_co_ci_u32_e32 v13, vcc_lo, s11, v20, vcc_lo
	s_delay_alu instid0(VALU_DEP_1) | instskip(SKIP_1) | instid1(VALU_DEP_1)
	v_cmp_eq_u64_e32 vcc_lo, 0, v[12:13]
	v_cndmask_b32_e32 v12, v12, v0, vcc_lo
	v_dual_cndmask_b32 v13, v13, v20 :: v_dual_and_b32 v14, v12, v14
	s_delay_alu instid0(VALU_DEP_1) | instskip(NEXT) | instid1(VALU_DEP_2)
	v_and_b32_e32 v0, v13, v15
	v_mul_hi_u32 v15, v14, 24
	s_delay_alu instid0(VALU_DEP_2) | instskip(SKIP_1) | instid1(VALU_DEP_2)
	v_mul_lo_u32 v0, v0, 24
	v_mul_lo_u32 v14, v14, 24
	v_add_nc_u32_e32 v0, v15, v0
	s_waitcnt vmcnt(0)
	s_delay_alu instid0(VALU_DEP_2) | instskip(SKIP_1) | instid1(VALU_DEP_3)
	v_add_co_u32 v16, vcc_lo, v16, v14
	v_dual_mov_b32 v14, v18 :: v_dual_mov_b32 v15, v19
	v_add_co_ci_u32_e32 v17, vcc_lo, v17, v0, vcc_lo
	global_store_b64 v[16:17], v[18:19], off
	s_waitcnt_vscnt null, 0x0
	global_atomic_cmpswap_b64 v[14:15], v1, v[12:15], s[8:9] offset:24 glc
	s_waitcnt vmcnt(0)
	v_cmp_ne_u64_e32 vcc_lo, v[14:15], v[18:19]
	s_and_b32 exec_lo, exec_lo, vcc_lo
	s_cbranch_execz .LBB11_1
; %bb.341:                              ;   in Loop: Header=BB11_2 Depth=1
	s_mov_b32 s0, 0
.LBB11_342:                             ;   Parent Loop BB11_2 Depth=1
                                        ; =>  This Inner Loop Header: Depth=2
	s_sleep 1
	global_store_b64 v[16:17], v[14:15], off
	s_waitcnt_vscnt null, 0x0
	global_atomic_cmpswap_b64 v[18:19], v1, v[12:15], s[8:9] offset:24 glc
	s_waitcnt vmcnt(0)
	v_cmp_eq_u64_e32 vcc_lo, v[18:19], v[14:15]
	v_dual_mov_b32 v14, v18 :: v_dual_mov_b32 v15, v19
	s_or_b32 s0, vcc_lo, s0
	s_delay_alu instid0(SALU_CYCLE_1)
	s_and_not1_b32 exec_lo, exec_lo, s0
	s_cbranch_execnz .LBB11_342
	s_branch .LBB11_1
.LBB11_343:
	s_nop 0
	s_sendmsg sendmsg(MSG_DEALLOC_VGPRS)
	s_endpgm
	.section	.rodata,"a",@progbits
	.p2align	6, 0x0
	.amdhsa_kernel _Z9printCutsiPN2rw3CutE
		.amdhsa_group_segment_fixed_size 0
		.amdhsa_private_segment_fixed_size 0
		.amdhsa_kernarg_size 272
		.amdhsa_user_sgpr_count 15
		.amdhsa_user_sgpr_dispatch_ptr 0
		.amdhsa_user_sgpr_queue_ptr 0
		.amdhsa_user_sgpr_kernarg_segment_ptr 1
		.amdhsa_user_sgpr_dispatch_id 0
		.amdhsa_user_sgpr_private_segment_size 0
		.amdhsa_wavefront_size32 1
		.amdhsa_uses_dynamic_stack 0
		.amdhsa_enable_private_segment 0
		.amdhsa_system_sgpr_workgroup_id_x 1
		.amdhsa_system_sgpr_workgroup_id_y 0
		.amdhsa_system_sgpr_workgroup_id_z 0
		.amdhsa_system_sgpr_workgroup_info 0
		.amdhsa_system_vgpr_workitem_id 0
		.amdhsa_next_free_vgpr 47
		.amdhsa_next_free_sgpr 28
		.amdhsa_reserve_vcc 1
		.amdhsa_float_round_mode_32 0
		.amdhsa_float_round_mode_16_64 0
		.amdhsa_float_denorm_mode_32 3
		.amdhsa_float_denorm_mode_16_64 3
		.amdhsa_dx10_clamp 1
		.amdhsa_ieee_mode 1
		.amdhsa_fp16_overflow 0
		.amdhsa_workgroup_processor_mode 1
		.amdhsa_memory_ordered 1
		.amdhsa_forward_progress 0
		.amdhsa_shared_vgpr_count 0
		.amdhsa_exception_fp_ieee_invalid_op 0
		.amdhsa_exception_fp_denorm_src 0
		.amdhsa_exception_fp_ieee_div_zero 0
		.amdhsa_exception_fp_ieee_overflow 0
		.amdhsa_exception_fp_ieee_underflow 0
		.amdhsa_exception_fp_ieee_inexact 0
		.amdhsa_exception_int_div_zero 0
	.end_amdhsa_kernel
	.text
.Lfunc_end11:
	.size	_Z9printCutsiPN2rw3CutE, .Lfunc_end11-_Z9printCutsiPN2rw3CutE
                                        ; -- End function
	.section	.AMDGPU.csdata,"",@progbits
; Kernel info:
; codeLenInByte = 15348
; NumSgprs: 30
; NumVgprs: 47
; ScratchSize: 0
; MemoryBound: 0
; FloatMode: 240
; IeeeMode: 1
; LDSByteSize: 0 bytes/workgroup (compile time only)
; SGPRBlocks: 3
; VGPRBlocks: 5
; NumSGPRsForWavesPerEU: 30
; NumVGPRsForWavesPerEU: 47
; Occupancy: 16
; WaveLimiterHint : 1
; COMPUTE_PGM_RSRC2:SCRATCH_EN: 0
; COMPUTE_PGM_RSRC2:USER_SGPR: 15
; COMPUTE_PGM_RSRC2:TRAP_HANDLER: 0
; COMPUTE_PGM_RSRC2:TGID_X_EN: 1
; COMPUTE_PGM_RSRC2:TGID_Y_EN: 0
; COMPUTE_PGM_RSRC2:TGID_Z_EN: 0
; COMPUTE_PGM_RSRC2:TIDIG_COMP_CNT: 0
	.text
	.protected	_Z7ConvertPiS_i         ; -- Begin function _Z7ConvertPiS_i
	.globl	_Z7ConvertPiS_i
	.p2align	8
	.type	_Z7ConvertPiS_i,@function
_Z7ConvertPiS_i:                        ; @_Z7ConvertPiS_i
; %bb.0:
	s_clause 0x1
	s_load_b32 s2, s[0:1], 0x24
	s_load_b32 s3, s[0:1], 0x10
	s_waitcnt lgkmcnt(0)
	s_and_b32 s2, s2, 0xffff
	s_delay_alu instid0(SALU_CYCLE_1) | instskip(SKIP_1) | instid1(VALU_DEP_1)
	v_mad_u64_u32 v[1:2], null, s15, s2, v[0:1]
	s_mov_b32 s2, exec_lo
	v_cmpx_gt_i32_e64 s3, v1
	s_cbranch_execz .LBB12_2
; %bb.1:
	s_load_b128 s[0:3], s[0:1], 0x0
	v_ashrrev_i32_e32 v2, 31, v1
	s_delay_alu instid0(VALU_DEP_1) | instskip(SKIP_1) | instid1(VALU_DEP_1)
	v_lshlrev_b64 v[0:1], 2, v[1:2]
	s_waitcnt lgkmcnt(0)
	v_add_co_u32 v2, vcc_lo, s0, v0
	s_delay_alu instid0(VALU_DEP_2)
	v_add_co_ci_u32_e32 v3, vcc_lo, s1, v1, vcc_lo
	v_add_co_u32 v0, vcc_lo, s2, v0
	v_add_co_ci_u32_e32 v1, vcc_lo, s3, v1, vcc_lo
	global_load_b32 v4, v[2:3], off
	s_waitcnt vmcnt(0)
	v_and_b32_e32 v4, 1, v4
	global_store_b32 v[0:1], v4, off
	global_load_b32 v0, v[2:3], off
	s_waitcnt vmcnt(0)
	v_ashrrev_i32_e32 v0, 1, v0
	global_store_b32 v[2:3], v0, off
.LBB12_2:
	s_nop 0
	s_sendmsg sendmsg(MSG_DEALLOC_VGPRS)
	s_endpgm
	.section	.rodata,"a",@progbits
	.p2align	6, 0x0
	.amdhsa_kernel _Z7ConvertPiS_i
		.amdhsa_group_segment_fixed_size 0
		.amdhsa_private_segment_fixed_size 0
		.amdhsa_kernarg_size 280
		.amdhsa_user_sgpr_count 15
		.amdhsa_user_sgpr_dispatch_ptr 0
		.amdhsa_user_sgpr_queue_ptr 0
		.amdhsa_user_sgpr_kernarg_segment_ptr 1
		.amdhsa_user_sgpr_dispatch_id 0
		.amdhsa_user_sgpr_private_segment_size 0
		.amdhsa_wavefront_size32 1
		.amdhsa_uses_dynamic_stack 0
		.amdhsa_enable_private_segment 0
		.amdhsa_system_sgpr_workgroup_id_x 1
		.amdhsa_system_sgpr_workgroup_id_y 0
		.amdhsa_system_sgpr_workgroup_id_z 0
		.amdhsa_system_sgpr_workgroup_info 0
		.amdhsa_system_vgpr_workitem_id 0
		.amdhsa_next_free_vgpr 5
		.amdhsa_next_free_sgpr 16
		.amdhsa_reserve_vcc 1
		.amdhsa_float_round_mode_32 0
		.amdhsa_float_round_mode_16_64 0
		.amdhsa_float_denorm_mode_32 3
		.amdhsa_float_denorm_mode_16_64 3
		.amdhsa_dx10_clamp 1
		.amdhsa_ieee_mode 1
		.amdhsa_fp16_overflow 0
		.amdhsa_workgroup_processor_mode 1
		.amdhsa_memory_ordered 1
		.amdhsa_forward_progress 0
		.amdhsa_shared_vgpr_count 0
		.amdhsa_exception_fp_ieee_invalid_op 0
		.amdhsa_exception_fp_denorm_src 0
		.amdhsa_exception_fp_ieee_div_zero 0
		.amdhsa_exception_fp_ieee_overflow 0
		.amdhsa_exception_fp_ieee_underflow 0
		.amdhsa_exception_fp_ieee_inexact 0
		.amdhsa_exception_int_div_zero 0
	.end_amdhsa_kernel
	.text
.Lfunc_end12:
	.size	_Z7ConvertPiS_i, .Lfunc_end12-_Z7ConvertPiS_i
                                        ; -- End function
	.section	.AMDGPU.csdata,"",@progbits
; Kernel info:
; codeLenInByte = 176
; NumSgprs: 18
; NumVgprs: 5
; ScratchSize: 0
; MemoryBound: 0
; FloatMode: 240
; IeeeMode: 1
; LDSByteSize: 0 bytes/workgroup (compile time only)
; SGPRBlocks: 2
; VGPRBlocks: 0
; NumSGPRsForWavesPerEU: 18
; NumVGPRsForWavesPerEU: 5
; Occupancy: 16
; WaveLimiterHint : 0
; COMPUTE_PGM_RSRC2:SCRATCH_EN: 0
; COMPUTE_PGM_RSRC2:USER_SGPR: 15
; COMPUTE_PGM_RSRC2:TRAP_HANDLER: 0
; COMPUTE_PGM_RSRC2:TGID_X_EN: 1
; COMPUTE_PGM_RSRC2:TGID_Y_EN: 0
; COMPUTE_PGM_RSRC2:TGID_Z_EN: 0
; COMPUTE_PGM_RSRC2:TIDIG_COMP_CNT: 0
	.text
	.protected	_Z6RevertPiS_i          ; -- Begin function _Z6RevertPiS_i
	.globl	_Z6RevertPiS_i
	.p2align	8
	.type	_Z6RevertPiS_i,@function
_Z6RevertPiS_i:                         ; @_Z6RevertPiS_i
; %bb.0:
	s_clause 0x1
	s_load_b32 s2, s[0:1], 0x24
	s_load_b32 s3, s[0:1], 0x10
	s_waitcnt lgkmcnt(0)
	s_and_b32 s2, s2, 0xffff
	s_delay_alu instid0(SALU_CYCLE_1) | instskip(SKIP_1) | instid1(VALU_DEP_1)
	v_mad_u64_u32 v[1:2], null, s15, s2, v[0:1]
	s_mov_b32 s2, exec_lo
	v_cmpx_ge_i32_e64 s3, v1
	s_cbranch_execz .LBB13_2
; %bb.1:
	s_load_b128 s[0:3], s[0:1], 0x0
	v_ashrrev_i32_e32 v2, 31, v1
	s_delay_alu instid0(VALU_DEP_1) | instskip(SKIP_1) | instid1(VALU_DEP_1)
	v_lshlrev_b64 v[0:1], 2, v[1:2]
	s_waitcnt lgkmcnt(0)
	v_add_co_u32 v2, vcc_lo, s0, v0
	s_delay_alu instid0(VALU_DEP_2)
	v_add_co_ci_u32_e32 v3, vcc_lo, s1, v1, vcc_lo
	v_add_co_u32 v0, vcc_lo, s2, v0
	v_add_co_ci_u32_e32 v1, vcc_lo, s3, v1, vcc_lo
	global_load_b32 v4, v[2:3], off
	s_waitcnt vmcnt(0)
	v_lshlrev_b32_e32 v4, 1, v4
	global_store_b32 v[2:3], v4, off
	global_load_b32 v0, v[0:1], off
	s_waitcnt vmcnt(0)
	v_add_nc_u32_e32 v0, v0, v4
	global_store_b32 v[2:3], v0, off
.LBB13_2:
	s_nop 0
	s_sendmsg sendmsg(MSG_DEALLOC_VGPRS)
	s_endpgm
	.section	.rodata,"a",@progbits
	.p2align	6, 0x0
	.amdhsa_kernel _Z6RevertPiS_i
		.amdhsa_group_segment_fixed_size 0
		.amdhsa_private_segment_fixed_size 0
		.amdhsa_kernarg_size 280
		.amdhsa_user_sgpr_count 15
		.amdhsa_user_sgpr_dispatch_ptr 0
		.amdhsa_user_sgpr_queue_ptr 0
		.amdhsa_user_sgpr_kernarg_segment_ptr 1
		.amdhsa_user_sgpr_dispatch_id 0
		.amdhsa_user_sgpr_private_segment_size 0
		.amdhsa_wavefront_size32 1
		.amdhsa_uses_dynamic_stack 0
		.amdhsa_enable_private_segment 0
		.amdhsa_system_sgpr_workgroup_id_x 1
		.amdhsa_system_sgpr_workgroup_id_y 0
		.amdhsa_system_sgpr_workgroup_id_z 0
		.amdhsa_system_sgpr_workgroup_info 0
		.amdhsa_system_vgpr_workitem_id 0
		.amdhsa_next_free_vgpr 5
		.amdhsa_next_free_sgpr 16
		.amdhsa_reserve_vcc 1
		.amdhsa_float_round_mode_32 0
		.amdhsa_float_round_mode_16_64 0
		.amdhsa_float_denorm_mode_32 3
		.amdhsa_float_denorm_mode_16_64 3
		.amdhsa_dx10_clamp 1
		.amdhsa_ieee_mode 1
		.amdhsa_fp16_overflow 0
		.amdhsa_workgroup_processor_mode 1
		.amdhsa_memory_ordered 1
		.amdhsa_forward_progress 0
		.amdhsa_shared_vgpr_count 0
		.amdhsa_exception_fp_ieee_invalid_op 0
		.amdhsa_exception_fp_denorm_src 0
		.amdhsa_exception_fp_ieee_div_zero 0
		.amdhsa_exception_fp_ieee_overflow 0
		.amdhsa_exception_fp_ieee_underflow 0
		.amdhsa_exception_fp_ieee_inexact 0
		.amdhsa_exception_int_div_zero 0
	.end_amdhsa_kernel
	.text
.Lfunc_end13:
	.size	_Z6RevertPiS_i, .Lfunc_end13-_Z6RevertPiS_i
                                        ; -- End function
	.section	.AMDGPU.csdata,"",@progbits
; Kernel info:
; codeLenInByte = 176
; NumSgprs: 18
; NumVgprs: 5
; ScratchSize: 0
; MemoryBound: 0
; FloatMode: 240
; IeeeMode: 1
; LDSByteSize: 0 bytes/workgroup (compile time only)
; SGPRBlocks: 2
; VGPRBlocks: 0
; NumSGPRsForWavesPerEU: 18
; NumVGPRsForWavesPerEU: 5
; Occupancy: 16
; WaveLimiterHint : 0
; COMPUTE_PGM_RSRC2:SCRATCH_EN: 0
; COMPUTE_PGM_RSRC2:USER_SGPR: 15
; COMPUTE_PGM_RSRC2:TRAP_HANDLER: 0
; COMPUTE_PGM_RSRC2:TGID_X_EN: 1
; COMPUTE_PGM_RSRC2:TGID_Y_EN: 0
; COMPUTE_PGM_RSRC2:TGID_Z_EN: 0
; COMPUTE_PGM_RSRC2:TIDIG_COMP_CNT: 0
	.text
	.protected	_Z5printiPN2rw3CutEPi   ; -- Begin function _Z5printiPN2rw3CutEPi
	.globl	_Z5printiPN2rw3CutEPi
	.p2align	8
	.type	_Z5printiPN2rw3CutEPi,@function
_Z5printiPN2rw3CutEPi:                  ; @_Z5printiPN2rw3CutEPi
; %bb.0:
	s_load_b32 s20, s[0:1], 0x0
	s_mov_b32 s21, 1
	s_waitcnt lgkmcnt(0)
	s_cmp_lt_i32 s20, 1
	s_cbranch_scc1 .LBB14_216
; %bb.1:
	s_load_b64 s[2:3], s[0:1], 0x8
	v_mbcnt_lo_u32_b32 v31, -1, 0
	s_add_u32 s8, s0, 24
	s_addc_u32 s9, s1, 0
	s_getpc_b64 s[0:1]
	s_add_u32 s0, s0, .str.4@rel32@lo+4
	s_addc_u32 s1, s1, .str.4@rel32@hi+12
	v_dual_mov_b32 v1, 0 :: v_dual_lshlrev_b32 v32, 6, v31
	v_dual_mov_b32 v2, 2 :: v_dual_mov_b32 v3, 1
	v_mov_b32_e32 v4, 33
	s_cmp_lg_u64 s[0:1], 0
	s_mov_b32 s4, 0
	s_cselect_b32 s22, -1, 0
	s_branch .LBB14_4
.LBB14_2:                               ;   in Loop: Header=BB14_4 Depth=1
	s_or_b32 exec_lo, exec_lo, s1
.LBB14_3:                               ;   in Loop: Header=BB14_4 Depth=1
	s_add_i32 s0, s21, 1
	s_cmp_eq_u32 s21, s20
	s_mov_b32 s21, s0
	s_cbranch_scc1 .LBB14_216
.LBB14_4:                               ; =>This Loop Header: Depth=1
                                        ;     Child Loop BB14_8 Depth 2
                                        ;     Child Loop BB14_16 Depth 2
	;; [unrolled: 1-line block ×9, first 2 shown]
                                        ;       Child Loop BB14_37 Depth 3
                                        ;       Child Loop BB14_44 Depth 3
	;; [unrolled: 1-line block ×11, first 2 shown]
                                        ;     Child Loop BB14_141 Depth 2
                                        ;     Child Loop BB14_149 Depth 2
                                        ;     Child Loop BB14_158 Depth 2
                                        ;     Child Loop BB14_163 Depth 2
                                        ;     Child Loop BB14_167 Depth 2
                                        ;     Child Loop BB14_175 Depth 2
                                        ;     Child Loop BB14_184 Depth 2
                                        ;     Child Loop BB14_189 Depth 2
                                        ;     Child Loop BB14_193 Depth 2
                                        ;     Child Loop BB14_201 Depth 2
                                        ;     Child Loop BB14_210 Depth 2
                                        ;     Child Loop BB14_215 Depth 2
	s_mul_i32 s0, s21, 28
	s_mul_hi_u32 s1, s21, 28
	s_waitcnt lgkmcnt(0)
	s_add_u32 s0, s2, s0
	s_addc_u32 s1, s3, s1
	global_load_u8 v0, v1, s[0:1] offset:24
	s_waitcnt vmcnt(0)
	v_cmp_eq_u32_e32 vcc_lo, 0, v0
	s_cbranch_vccnz .LBB14_3
; %bb.5:                                ;   in Loop: Header=BB14_4 Depth=1
	s_clause 0x1
	global_load_b32 v33, v1, s[0:1] offset:20
	global_load_b32 v8, v1, s[0:1]
	s_load_b64 s[10:11], s[8:9], 0x50
	v_readfirstlane_b32 s0, v31
	v_mov_b32_e32 v5, 0
	v_mov_b32_e32 v6, 0
	s_delay_alu instid0(VALU_DEP_3) | instskip(NEXT) | instid1(VALU_DEP_1)
	v_cmp_eq_u32_e64 s0, s0, v31
	s_and_saveexec_b32 s1, s0
	s_cbranch_execz .LBB14_11
; %bb.6:                                ;   in Loop: Header=BB14_4 Depth=1
	s_waitcnt lgkmcnt(0)
	global_load_b64 v[11:12], v1, s[10:11] offset:24 glc
	s_waitcnt vmcnt(0)
	buffer_gl1_inv
	buffer_gl0_inv
	s_clause 0x1
	global_load_b64 v[5:6], v1, s[10:11] offset:40
	global_load_b64 v[9:10], v1, s[10:11]
	s_mov_b32 s5, exec_lo
	s_waitcnt vmcnt(1)
	v_and_b32_e32 v0, v6, v12
	v_and_b32_e32 v5, v5, v11
	s_delay_alu instid0(VALU_DEP_2) | instskip(NEXT) | instid1(VALU_DEP_2)
	v_mul_lo_u32 v0, v0, 24
	v_mul_hi_u32 v6, v5, 24
	v_mul_lo_u32 v5, v5, 24
	s_delay_alu instid0(VALU_DEP_2) | instskip(SKIP_1) | instid1(VALU_DEP_2)
	v_add_nc_u32_e32 v0, v6, v0
	s_waitcnt vmcnt(0)
	v_add_co_u32 v5, vcc_lo, v9, v5
	s_delay_alu instid0(VALU_DEP_2)
	v_add_co_ci_u32_e32 v6, vcc_lo, v10, v0, vcc_lo
	global_load_b64 v[9:10], v[5:6], off glc
	s_waitcnt vmcnt(0)
	global_atomic_cmpswap_b64 v[5:6], v1, v[9:12], s[10:11] offset:24 glc
	s_waitcnt vmcnt(0)
	buffer_gl1_inv
	buffer_gl0_inv
	v_cmpx_ne_u64_e64 v[5:6], v[11:12]
	s_cbranch_execz .LBB14_10
; %bb.7:                                ;   in Loop: Header=BB14_4 Depth=1
	s_mov_b32 s6, 0
	.p2align	6
.LBB14_8:                               ;   Parent Loop BB14_4 Depth=1
                                        ; =>  This Inner Loop Header: Depth=2
	s_sleep 1
	s_clause 0x1
	global_load_b64 v[9:10], v1, s[10:11] offset:40
	global_load_b64 v[13:14], v1, s[10:11]
	v_dual_mov_b32 v12, v6 :: v_dual_mov_b32 v11, v5
	s_waitcnt vmcnt(1)
	s_delay_alu instid0(VALU_DEP_1) | instskip(NEXT) | instid1(VALU_DEP_2)
	v_and_b32_e32 v0, v9, v11
	v_and_b32_e32 v9, v10, v12
	s_waitcnt vmcnt(0)
	s_delay_alu instid0(VALU_DEP_2) | instskip(NEXT) | instid1(VALU_DEP_1)
	v_mad_u64_u32 v[5:6], null, v0, 24, v[13:14]
	v_mov_b32_e32 v0, v6
	s_delay_alu instid0(VALU_DEP_1)
	v_mad_u64_u32 v[6:7], null, v9, 24, v[0:1]
	global_load_b64 v[9:10], v[5:6], off glc
	s_waitcnt vmcnt(0)
	global_atomic_cmpswap_b64 v[5:6], v1, v[9:12], s[10:11] offset:24 glc
	s_waitcnt vmcnt(0)
	buffer_gl1_inv
	buffer_gl0_inv
	v_cmp_eq_u64_e32 vcc_lo, v[5:6], v[11:12]
	s_or_b32 s6, vcc_lo, s6
	s_delay_alu instid0(SALU_CYCLE_1)
	s_and_not1_b32 exec_lo, exec_lo, s6
	s_cbranch_execnz .LBB14_8
; %bb.9:                                ;   in Loop: Header=BB14_4 Depth=1
	s_or_b32 exec_lo, exec_lo, s6
.LBB14_10:                              ;   in Loop: Header=BB14_4 Depth=1
	s_delay_alu instid0(SALU_CYCLE_1)
	s_or_b32 exec_lo, exec_lo, s5
.LBB14_11:                              ;   in Loop: Header=BB14_4 Depth=1
	s_delay_alu instid0(SALU_CYCLE_1)
	s_or_b32 exec_lo, exec_lo, s1
	s_waitcnt lgkmcnt(0)
	s_clause 0x1
	global_load_b64 v[13:14], v1, s[10:11] offset:40
	global_load_b128 v[9:12], v1, s[10:11]
	v_readfirstlane_b32 s12, v5
	v_readfirstlane_b32 s13, v6
	s_mov_b32 s1, exec_lo
	s_waitcnt vmcnt(1)
	v_readfirstlane_b32 s6, v13
	v_readfirstlane_b32 s7, v14
	s_delay_alu instid0(VALU_DEP_1) | instskip(NEXT) | instid1(SALU_CYCLE_1)
	s_and_b64 s[6:7], s[12:13], s[6:7]
	s_mul_i32 s5, s7, 24
	s_mul_hi_u32 s14, s6, 24
	s_mul_i32 s15, s6, 24
	s_add_i32 s14, s14, s5
	s_waitcnt vmcnt(0)
	v_add_co_u32 v13, vcc_lo, v9, s15
	v_add_co_ci_u32_e32 v14, vcc_lo, s14, v10, vcc_lo
	s_and_saveexec_b32 s5, s0
	s_cbranch_execz .LBB14_13
; %bb.12:                               ;   in Loop: Header=BB14_4 Depth=1
	v_mov_b32_e32 v0, s1
	global_store_b128 v[13:14], v[0:3], off offset:8
.LBB14_13:                              ;   in Loop: Header=BB14_4 Depth=1
	s_or_b32 exec_lo, exec_lo, s5
	s_lshl_b64 s[6:7], s[6:7], 12
	s_mov_b32 s5, s4
	v_add_co_u32 v15, vcc_lo, v11, s6
	v_add_co_ci_u32_e32 v16, vcc_lo, s7, v12, vcc_lo
	s_mov_b32 s7, s4
	s_mov_b32 s6, s4
	v_dual_mov_b32 v5, v1 :: v_dual_mov_b32 v20, s7
	v_dual_mov_b32 v6, v1 :: v_dual_mov_b32 v19, s6
	;; [unrolled: 1-line block ×3, first 2 shown]
	v_readfirstlane_b32 s14, v15
	v_readfirstlane_b32 s15, v16
	v_mov_b32_e32 v17, s4
	s_clause 0x3
	global_store_b128 v32, v[4:7], s[14:15]
	global_store_b128 v32, v[17:20], s[14:15] offset:16
	global_store_b128 v32, v[17:20], s[14:15] offset:32
	;; [unrolled: 1-line block ×3, first 2 shown]
	s_and_saveexec_b32 s1, s0
	s_cbranch_execz .LBB14_21
; %bb.14:                               ;   in Loop: Header=BB14_4 Depth=1
	s_clause 0x1
	global_load_b64 v[19:20], v1, s[10:11] offset:32 glc
	global_load_b64 v[5:6], v1, s[10:11] offset:40
	s_mov_b32 s5, exec_lo
	v_dual_mov_b32 v17, s12 :: v_dual_mov_b32 v18, s13
	s_waitcnt vmcnt(0)
	v_and_b32_e32 v0, s13, v6
	v_and_b32_e32 v5, s12, v5
	s_delay_alu instid0(VALU_DEP_2) | instskip(NEXT) | instid1(VALU_DEP_2)
	v_mul_lo_u32 v0, v0, 24
	v_mul_hi_u32 v6, v5, 24
	v_mul_lo_u32 v5, v5, 24
	s_delay_alu instid0(VALU_DEP_2) | instskip(NEXT) | instid1(VALU_DEP_2)
	v_add_nc_u32_e32 v0, v6, v0
	v_add_co_u32 v5, vcc_lo, v9, v5
	s_delay_alu instid0(VALU_DEP_2)
	v_add_co_ci_u32_e32 v6, vcc_lo, v10, v0, vcc_lo
	global_store_b64 v[5:6], v[19:20], off
	s_waitcnt_vscnt null, 0x0
	global_atomic_cmpswap_b64 v[11:12], v1, v[17:20], s[10:11] offset:32 glc
	s_waitcnt vmcnt(0)
	v_cmpx_ne_u64_e64 v[11:12], v[19:20]
	s_cbranch_execz .LBB14_17
; %bb.15:                               ;   in Loop: Header=BB14_4 Depth=1
	s_mov_b32 s6, 0
.LBB14_16:                              ;   Parent Loop BB14_4 Depth=1
                                        ; =>  This Inner Loop Header: Depth=2
	v_dual_mov_b32 v9, s12 :: v_dual_mov_b32 v10, s13
	s_sleep 1
	global_store_b64 v[5:6], v[11:12], off
	s_waitcnt_vscnt null, 0x0
	global_atomic_cmpswap_b64 v[9:10], v1, v[9:12], s[10:11] offset:32 glc
	s_waitcnt vmcnt(0)
	v_cmp_eq_u64_e32 vcc_lo, v[9:10], v[11:12]
	v_dual_mov_b32 v12, v10 :: v_dual_mov_b32 v11, v9
	s_or_b32 s6, vcc_lo, s6
	s_delay_alu instid0(SALU_CYCLE_1)
	s_and_not1_b32 exec_lo, exec_lo, s6
	s_cbranch_execnz .LBB14_16
.LBB14_17:                              ;   in Loop: Header=BB14_4 Depth=1
	s_or_b32 exec_lo, exec_lo, s5
	global_load_b64 v[5:6], v1, s[10:11] offset:16
	s_mov_b32 s6, exec_lo
	s_mov_b32 s5, exec_lo
	v_mbcnt_lo_u32_b32 v0, s6, 0
	s_delay_alu instid0(VALU_DEP_1)
	v_cmpx_eq_u32_e32 0, v0
	s_cbranch_execz .LBB14_19
; %bb.18:                               ;   in Loop: Header=BB14_4 Depth=1
	s_bcnt1_i32_b32 s6, s6
	s_delay_alu instid0(SALU_CYCLE_1)
	v_mov_b32_e32 v0, s6
	s_waitcnt vmcnt(0)
	global_atomic_add_u64 v[5:6], v[0:1], off offset:8
.LBB14_19:                              ;   in Loop: Header=BB14_4 Depth=1
	s_or_b32 exec_lo, exec_lo, s5
	s_waitcnt vmcnt(0)
	global_load_b64 v[9:10], v[5:6], off offset:16
	s_waitcnt vmcnt(0)
	v_cmp_eq_u64_e32 vcc_lo, 0, v[9:10]
	s_cbranch_vccnz .LBB14_21
; %bb.20:                               ;   in Loop: Header=BB14_4 Depth=1
	global_load_b32 v0, v[5:6], off offset:24
	s_waitcnt vmcnt(0)
	v_and_b32_e32 v5, 0xffffff, v0
	s_waitcnt_vscnt null, 0x0
	global_store_b64 v[9:10], v[0:1], off
	v_readfirstlane_b32 m0, v5
	s_sendmsg sendmsg(MSG_INTERRUPT)
.LBB14_21:                              ;   in Loop: Header=BB14_4 Depth=1
	s_or_b32 exec_lo, exec_lo, s1
	v_add_co_u32 v5, vcc_lo, v15, v32
	v_add_co_ci_u32_e32 v6, vcc_lo, 0, v16, vcc_lo
	s_branch .LBB14_25
	.p2align	6
.LBB14_22:                              ;   in Loop: Header=BB14_25 Depth=2
	s_or_b32 exec_lo, exec_lo, s1
	s_delay_alu instid0(VALU_DEP_1) | instskip(NEXT) | instid1(VALU_DEP_1)
	v_readfirstlane_b32 s1, v0
	s_cmp_eq_u32 s1, 0
	s_cbranch_scc1 .LBB14_24
; %bb.23:                               ;   in Loop: Header=BB14_25 Depth=2
	s_sleep 1
	s_cbranch_execnz .LBB14_25
	s_branch .LBB14_27
	.p2align	6
.LBB14_24:                              ;   in Loop: Header=BB14_4 Depth=1
	s_branch .LBB14_27
.LBB14_25:                              ;   Parent Loop BB14_4 Depth=1
                                        ; =>  This Inner Loop Header: Depth=2
	v_mov_b32_e32 v0, 1
	s_and_saveexec_b32 s1, s0
	s_cbranch_execz .LBB14_22
; %bb.26:                               ;   in Loop: Header=BB14_25 Depth=2
	global_load_b32 v0, v[13:14], off offset:20 glc
	s_waitcnt vmcnt(0)
	buffer_gl1_inv
	buffer_gl0_inv
	v_and_b32_e32 v0, 1, v0
	s_branch .LBB14_22
.LBB14_27:                              ;   in Loop: Header=BB14_4 Depth=1
	global_load_b64 v[9:10], v[5:6], off
	s_and_saveexec_b32 s1, s0
	s_cbranch_execz .LBB14_31
; %bb.28:                               ;   in Loop: Header=BB14_4 Depth=1
	s_clause 0x2
	global_load_b64 v[5:6], v1, s[10:11] offset:40
	global_load_b64 v[15:16], v1, s[10:11] offset:24 glc
	global_load_b64 v[13:14], v1, s[10:11]
	s_waitcnt vmcnt(2)
	v_add_co_u32 v0, vcc_lo, v5, 1
	v_add_co_ci_u32_e32 v7, vcc_lo, 0, v6, vcc_lo
	s_delay_alu instid0(VALU_DEP_2) | instskip(NEXT) | instid1(VALU_DEP_2)
	v_add_co_u32 v11, vcc_lo, v0, s12
	v_add_co_ci_u32_e32 v12, vcc_lo, s13, v7, vcc_lo
	s_delay_alu instid0(VALU_DEP_1) | instskip(SKIP_1) | instid1(VALU_DEP_1)
	v_cmp_eq_u64_e32 vcc_lo, 0, v[11:12]
	v_dual_cndmask_b32 v12, v12, v7 :: v_dual_cndmask_b32 v11, v11, v0
	v_and_b32_e32 v0, v12, v6
	s_delay_alu instid0(VALU_DEP_2) | instskip(NEXT) | instid1(VALU_DEP_1)
	v_and_b32_e32 v5, v11, v5
	v_mul_hi_u32 v6, v5, 24
	v_mul_lo_u32 v5, v5, 24
	s_waitcnt vmcnt(0)
	s_delay_alu instid0(VALU_DEP_1) | instskip(SKIP_2) | instid1(VALU_DEP_1)
	v_add_co_u32 v5, vcc_lo, v13, v5
	v_mov_b32_e32 v13, v15
	v_mul_lo_u32 v0, v0, 24
	v_add_nc_u32_e32 v0, v6, v0
	s_delay_alu instid0(VALU_DEP_1)
	v_add_co_ci_u32_e32 v6, vcc_lo, v14, v0, vcc_lo
	v_mov_b32_e32 v14, v16
	global_store_b64 v[5:6], v[15:16], off
	s_waitcnt_vscnt null, 0x0
	global_atomic_cmpswap_b64 v[13:14], v1, v[11:14], s[10:11] offset:24 glc
	s_waitcnt vmcnt(0)
	v_cmp_ne_u64_e32 vcc_lo, v[13:14], v[15:16]
	s_and_b32 exec_lo, exec_lo, vcc_lo
	s_cbranch_execz .LBB14_31
; %bb.29:                               ;   in Loop: Header=BB14_4 Depth=1
	s_mov_b32 s0, 0
.LBB14_30:                              ;   Parent Loop BB14_4 Depth=1
                                        ; =>  This Inner Loop Header: Depth=2
	s_sleep 1
	global_store_b64 v[5:6], v[13:14], off
	s_waitcnt_vscnt null, 0x0
	global_atomic_cmpswap_b64 v[15:16], v1, v[11:14], s[10:11] offset:24 glc
	s_waitcnt vmcnt(0)
	v_cmp_eq_u64_e32 vcc_lo, v[15:16], v[13:14]
	v_dual_mov_b32 v13, v15 :: v_dual_mov_b32 v14, v16
	s_or_b32 s0, vcc_lo, s0
	s_delay_alu instid0(SALU_CYCLE_1)
	s_and_not1_b32 exec_lo, exec_lo, s0
	s_cbranch_execnz .LBB14_30
.LBB14_31:                              ;   in Loop: Header=BB14_4 Depth=1
	s_or_b32 exec_lo, exec_lo, s1
	s_delay_alu instid0(SALU_CYCLE_1)
	s_and_b32 vcc_lo, exec_lo, s22
	s_cbranch_vccz .LBB14_110
; %bb.32:                               ;   in Loop: Header=BB14_4 Depth=1
	s_waitcnt vmcnt(0)
	v_dual_mov_b32 v12, v10 :: v_dual_and_b32 v7, 2, v9
	v_and_b32_e32 v11, -3, v9
	s_mov_b64 s[12:13], 20
	s_getpc_b64 s[6:7]
	s_add_u32 s6, s6, .str.4@rel32@lo+4
	s_addc_u32 s7, s7, .str.4@rel32@hi+12
	s_branch .LBB14_34
.LBB14_33:                              ;   in Loop: Header=BB14_34 Depth=2
	s_or_b32 exec_lo, exec_lo, s1
	s_sub_u32 s12, s12, s14
	s_subb_u32 s13, s13, s15
	s_add_u32 s6, s6, s14
	s_addc_u32 s7, s7, s15
	s_cmp_lg_u64 s[12:13], 0
	s_cbranch_scc0 .LBB14_109
.LBB14_34:                              ;   Parent Loop BB14_4 Depth=1
                                        ; =>  This Loop Header: Depth=2
                                        ;       Child Loop BB14_37 Depth 3
                                        ;       Child Loop BB14_44 Depth 3
	;; [unrolled: 1-line block ×11, first 2 shown]
	v_cmp_lt_u64_e64 s0, s[12:13], 56
	v_cmp_gt_u64_e64 s1, s[12:13], 7
	s_delay_alu instid0(VALU_DEP_2) | instskip(SKIP_2) | instid1(VALU_DEP_1)
	s_and_b32 s0, s0, exec_lo
	s_cselect_b32 s15, s13, 0
	s_cselect_b32 s14, s12, 56
	s_and_b32 vcc_lo, exec_lo, s1
	s_cbranch_vccnz .LBB14_39
; %bb.35:                               ;   in Loop: Header=BB14_34 Depth=2
	s_waitcnt vmcnt(0)
	v_mov_b32_e32 v13, 0
	v_mov_b32_e32 v14, 0
	s_cmp_eq_u64 s[12:13], 0
	s_mov_b64 s[0:1], 0
	s_cbranch_scc1 .LBB14_38
; %bb.36:                               ;   in Loop: Header=BB14_34 Depth=2
	v_mov_b32_e32 v13, 0
	v_mov_b32_e32 v14, 0
	s_lshl_b64 s[16:17], s[14:15], 3
	s_mov_b64 s[18:19], s[6:7]
.LBB14_37:                              ;   Parent Loop BB14_4 Depth=1
                                        ;     Parent Loop BB14_34 Depth=2
                                        ; =>    This Inner Loop Header: Depth=3
	global_load_u8 v0, v1, s[18:19]
	s_waitcnt vmcnt(0)
	v_and_b32_e32 v0, 0xffff, v0
	s_delay_alu instid0(VALU_DEP_1)
	v_lshlrev_b64 v[5:6], s0, v[0:1]
	s_add_u32 s0, s0, 8
	s_addc_u32 s1, s1, 0
	s_add_u32 s18, s18, 1
	s_addc_u32 s19, s19, 0
	s_cmp_lg_u32 s16, s0
	v_or_b32_e32 v13, v5, v13
	v_or_b32_e32 v14, v6, v14
	s_cbranch_scc1 .LBB14_37
.LBB14_38:                              ;   in Loop: Header=BB14_34 Depth=2
	s_mov_b32 s5, 0
	s_mov_b64 s[0:1], s[6:7]
	s_cbranch_execz .LBB14_40
	s_branch .LBB14_41
.LBB14_39:                              ;   in Loop: Header=BB14_34 Depth=2
                                        ; implicit-def: $vgpr13_vgpr14
                                        ; implicit-def: $sgpr5
	s_mov_b64 s[0:1], s[6:7]
.LBB14_40:                              ;   in Loop: Header=BB14_34 Depth=2
	global_load_b64 v[13:14], v1, s[6:7]
	s_add_i32 s5, s14, -8
	s_add_u32 s0, s6, 8
	s_addc_u32 s1, s7, 0
.LBB14_41:                              ;   in Loop: Header=BB14_34 Depth=2
	s_cmp_gt_u32 s5, 7
	s_cbranch_scc1 .LBB14_46
; %bb.42:                               ;   in Loop: Header=BB14_34 Depth=2
	v_mov_b32_e32 v15, 0
	v_mov_b32_e32 v16, 0
	s_cmp_eq_u32 s5, 0
	s_cbranch_scc1 .LBB14_45
; %bb.43:                               ;   in Loop: Header=BB14_34 Depth=2
	s_mov_b64 s[16:17], 0
	s_mov_b64 s[18:19], 0
.LBB14_44:                              ;   Parent Loop BB14_4 Depth=1
                                        ;     Parent Loop BB14_34 Depth=2
                                        ; =>    This Inner Loop Header: Depth=3
	s_delay_alu instid0(SALU_CYCLE_1)
	s_add_u32 s24, s0, s18
	s_addc_u32 s25, s1, s19
	s_add_u32 s18, s18, 1
	global_load_u8 v0, v1, s[24:25]
	s_addc_u32 s19, s19, 0
	s_waitcnt vmcnt(0)
	v_and_b32_e32 v0, 0xffff, v0
	s_delay_alu instid0(VALU_DEP_1) | instskip(SKIP_3) | instid1(VALU_DEP_1)
	v_lshlrev_b64 v[5:6], s16, v[0:1]
	s_add_u32 s16, s16, 8
	s_addc_u32 s17, s17, 0
	s_cmp_lg_u32 s5, s18
	v_or_b32_e32 v15, v5, v15
	s_delay_alu instid0(VALU_DEP_2)
	v_or_b32_e32 v16, v6, v16
	s_cbranch_scc1 .LBB14_44
.LBB14_45:                              ;   in Loop: Header=BB14_34 Depth=2
	s_mov_b32 s23, 0
	s_cbranch_execz .LBB14_47
	s_branch .LBB14_48
.LBB14_46:                              ;   in Loop: Header=BB14_34 Depth=2
                                        ; implicit-def: $vgpr15_vgpr16
                                        ; implicit-def: $sgpr23
.LBB14_47:                              ;   in Loop: Header=BB14_34 Depth=2
	global_load_b64 v[15:16], v1, s[0:1]
	s_add_i32 s23, s5, -8
	s_add_u32 s0, s0, 8
	s_addc_u32 s1, s1, 0
.LBB14_48:                              ;   in Loop: Header=BB14_34 Depth=2
	s_cmp_gt_u32 s23, 7
	s_cbranch_scc1 .LBB14_53
; %bb.49:                               ;   in Loop: Header=BB14_34 Depth=2
	v_mov_b32_e32 v17, 0
	v_mov_b32_e32 v18, 0
	s_cmp_eq_u32 s23, 0
	s_cbranch_scc1 .LBB14_52
; %bb.50:                               ;   in Loop: Header=BB14_34 Depth=2
	s_mov_b64 s[16:17], 0
	s_mov_b64 s[18:19], 0
.LBB14_51:                              ;   Parent Loop BB14_4 Depth=1
                                        ;     Parent Loop BB14_34 Depth=2
                                        ; =>    This Inner Loop Header: Depth=3
	s_delay_alu instid0(SALU_CYCLE_1)
	s_add_u32 s24, s0, s18
	s_addc_u32 s25, s1, s19
	s_add_u32 s18, s18, 1
	global_load_u8 v0, v1, s[24:25]
	s_addc_u32 s19, s19, 0
	s_waitcnt vmcnt(0)
	v_and_b32_e32 v0, 0xffff, v0
	s_delay_alu instid0(VALU_DEP_1) | instskip(SKIP_3) | instid1(VALU_DEP_1)
	v_lshlrev_b64 v[5:6], s16, v[0:1]
	s_add_u32 s16, s16, 8
	s_addc_u32 s17, s17, 0
	s_cmp_lg_u32 s23, s18
	v_or_b32_e32 v17, v5, v17
	s_delay_alu instid0(VALU_DEP_2)
	v_or_b32_e32 v18, v6, v18
	s_cbranch_scc1 .LBB14_51
.LBB14_52:                              ;   in Loop: Header=BB14_34 Depth=2
	s_mov_b32 s5, 0
	s_cbranch_execz .LBB14_54
	s_branch .LBB14_55
.LBB14_53:                              ;   in Loop: Header=BB14_34 Depth=2
                                        ; implicit-def: $sgpr5
.LBB14_54:                              ;   in Loop: Header=BB14_34 Depth=2
	global_load_b64 v[17:18], v1, s[0:1]
	s_add_i32 s5, s23, -8
	s_add_u32 s0, s0, 8
	s_addc_u32 s1, s1, 0
.LBB14_55:                              ;   in Loop: Header=BB14_34 Depth=2
	s_cmp_gt_u32 s5, 7
	s_cbranch_scc1 .LBB14_60
; %bb.56:                               ;   in Loop: Header=BB14_34 Depth=2
	v_mov_b32_e32 v19, 0
	v_mov_b32_e32 v20, 0
	s_cmp_eq_u32 s5, 0
	s_cbranch_scc1 .LBB14_59
; %bb.57:                               ;   in Loop: Header=BB14_34 Depth=2
	s_mov_b64 s[16:17], 0
	s_mov_b64 s[18:19], 0
.LBB14_58:                              ;   Parent Loop BB14_4 Depth=1
                                        ;     Parent Loop BB14_34 Depth=2
                                        ; =>    This Inner Loop Header: Depth=3
	s_delay_alu instid0(SALU_CYCLE_1)
	s_add_u32 s24, s0, s18
	s_addc_u32 s25, s1, s19
	s_add_u32 s18, s18, 1
	global_load_u8 v0, v1, s[24:25]
	s_addc_u32 s19, s19, 0
	s_waitcnt vmcnt(0)
	v_and_b32_e32 v0, 0xffff, v0
	s_delay_alu instid0(VALU_DEP_1) | instskip(SKIP_3) | instid1(VALU_DEP_1)
	v_lshlrev_b64 v[5:6], s16, v[0:1]
	s_add_u32 s16, s16, 8
	s_addc_u32 s17, s17, 0
	s_cmp_lg_u32 s5, s18
	v_or_b32_e32 v19, v5, v19
	s_delay_alu instid0(VALU_DEP_2)
	v_or_b32_e32 v20, v6, v20
	s_cbranch_scc1 .LBB14_58
.LBB14_59:                              ;   in Loop: Header=BB14_34 Depth=2
	s_mov_b32 s23, 0
	s_cbranch_execz .LBB14_61
	s_branch .LBB14_62
.LBB14_60:                              ;   in Loop: Header=BB14_34 Depth=2
                                        ; implicit-def: $vgpr19_vgpr20
                                        ; implicit-def: $sgpr23
.LBB14_61:                              ;   in Loop: Header=BB14_34 Depth=2
	global_load_b64 v[19:20], v1, s[0:1]
	s_add_i32 s23, s5, -8
	s_add_u32 s0, s0, 8
	s_addc_u32 s1, s1, 0
.LBB14_62:                              ;   in Loop: Header=BB14_34 Depth=2
	s_cmp_gt_u32 s23, 7
	s_cbranch_scc1 .LBB14_67
; %bb.63:                               ;   in Loop: Header=BB14_34 Depth=2
	v_mov_b32_e32 v21, 0
	v_mov_b32_e32 v22, 0
	s_cmp_eq_u32 s23, 0
	s_cbranch_scc1 .LBB14_66
; %bb.64:                               ;   in Loop: Header=BB14_34 Depth=2
	s_mov_b64 s[16:17], 0
	s_mov_b64 s[18:19], 0
.LBB14_65:                              ;   Parent Loop BB14_4 Depth=1
                                        ;     Parent Loop BB14_34 Depth=2
                                        ; =>    This Inner Loop Header: Depth=3
	s_delay_alu instid0(SALU_CYCLE_1)
	s_add_u32 s24, s0, s18
	s_addc_u32 s25, s1, s19
	s_add_u32 s18, s18, 1
	global_load_u8 v0, v1, s[24:25]
	s_addc_u32 s19, s19, 0
	s_waitcnt vmcnt(0)
	v_and_b32_e32 v0, 0xffff, v0
	s_delay_alu instid0(VALU_DEP_1) | instskip(SKIP_3) | instid1(VALU_DEP_1)
	v_lshlrev_b64 v[5:6], s16, v[0:1]
	s_add_u32 s16, s16, 8
	s_addc_u32 s17, s17, 0
	s_cmp_lg_u32 s23, s18
	v_or_b32_e32 v21, v5, v21
	s_delay_alu instid0(VALU_DEP_2)
	v_or_b32_e32 v22, v6, v22
	s_cbranch_scc1 .LBB14_65
.LBB14_66:                              ;   in Loop: Header=BB14_34 Depth=2
	s_mov_b32 s5, 0
	s_cbranch_execz .LBB14_68
	s_branch .LBB14_69
.LBB14_67:                              ;   in Loop: Header=BB14_34 Depth=2
                                        ; implicit-def: $sgpr5
.LBB14_68:                              ;   in Loop: Header=BB14_34 Depth=2
	global_load_b64 v[21:22], v1, s[0:1]
	s_add_i32 s5, s23, -8
	s_add_u32 s0, s0, 8
	s_addc_u32 s1, s1, 0
.LBB14_69:                              ;   in Loop: Header=BB14_34 Depth=2
	s_cmp_gt_u32 s5, 7
	s_cbranch_scc1 .LBB14_74
; %bb.70:                               ;   in Loop: Header=BB14_34 Depth=2
	v_mov_b32_e32 v23, 0
	v_mov_b32_e32 v24, 0
	s_cmp_eq_u32 s5, 0
	s_cbranch_scc1 .LBB14_73
; %bb.71:                               ;   in Loop: Header=BB14_34 Depth=2
	s_mov_b64 s[16:17], 0
	s_mov_b64 s[18:19], 0
.LBB14_72:                              ;   Parent Loop BB14_4 Depth=1
                                        ;     Parent Loop BB14_34 Depth=2
                                        ; =>    This Inner Loop Header: Depth=3
	s_delay_alu instid0(SALU_CYCLE_1)
	s_add_u32 s24, s0, s18
	s_addc_u32 s25, s1, s19
	s_add_u32 s18, s18, 1
	global_load_u8 v0, v1, s[24:25]
	s_addc_u32 s19, s19, 0
	s_waitcnt vmcnt(0)
	v_and_b32_e32 v0, 0xffff, v0
	s_delay_alu instid0(VALU_DEP_1) | instskip(SKIP_3) | instid1(VALU_DEP_1)
	v_lshlrev_b64 v[5:6], s16, v[0:1]
	s_add_u32 s16, s16, 8
	s_addc_u32 s17, s17, 0
	s_cmp_lg_u32 s5, s18
	v_or_b32_e32 v23, v5, v23
	s_delay_alu instid0(VALU_DEP_2)
	v_or_b32_e32 v24, v6, v24
	s_cbranch_scc1 .LBB14_72
.LBB14_73:                              ;   in Loop: Header=BB14_34 Depth=2
	s_mov_b32 s23, 0
	s_cbranch_execz .LBB14_75
	s_branch .LBB14_76
.LBB14_74:                              ;   in Loop: Header=BB14_34 Depth=2
                                        ; implicit-def: $vgpr23_vgpr24
                                        ; implicit-def: $sgpr23
.LBB14_75:                              ;   in Loop: Header=BB14_34 Depth=2
	global_load_b64 v[23:24], v1, s[0:1]
	s_add_i32 s23, s5, -8
	s_add_u32 s0, s0, 8
	s_addc_u32 s1, s1, 0
.LBB14_76:                              ;   in Loop: Header=BB14_34 Depth=2
	s_cmp_gt_u32 s23, 7
	s_cbranch_scc1 .LBB14_81
; %bb.77:                               ;   in Loop: Header=BB14_34 Depth=2
	v_mov_b32_e32 v25, 0
	v_mov_b32_e32 v26, 0
	s_cmp_eq_u32 s23, 0
	s_cbranch_scc1 .LBB14_80
; %bb.78:                               ;   in Loop: Header=BB14_34 Depth=2
	s_mov_b64 s[16:17], 0
	s_mov_b64 s[18:19], s[0:1]
.LBB14_79:                              ;   Parent Loop BB14_4 Depth=1
                                        ;     Parent Loop BB14_34 Depth=2
                                        ; =>    This Inner Loop Header: Depth=3
	global_load_u8 v0, v1, s[18:19]
	s_add_i32 s23, s23, -1
	s_waitcnt vmcnt(0)
	v_and_b32_e32 v0, 0xffff, v0
	s_delay_alu instid0(VALU_DEP_1)
	v_lshlrev_b64 v[5:6], s16, v[0:1]
	s_add_u32 s16, s16, 8
	s_addc_u32 s17, s17, 0
	s_add_u32 s18, s18, 1
	s_addc_u32 s19, s19, 0
	s_cmp_lg_u32 s23, 0
	v_or_b32_e32 v25, v5, v25
	v_or_b32_e32 v26, v6, v26
	s_cbranch_scc1 .LBB14_79
.LBB14_80:                              ;   in Loop: Header=BB14_34 Depth=2
	s_cbranch_execz .LBB14_82
	s_branch .LBB14_83
.LBB14_81:                              ;   in Loop: Header=BB14_34 Depth=2
.LBB14_82:                              ;   in Loop: Header=BB14_34 Depth=2
	global_load_b64 v[25:26], v1, s[0:1]
.LBB14_83:                              ;   in Loop: Header=BB14_34 Depth=2
	v_readfirstlane_b32 s0, v31
	v_mov_b32_e32 v5, 0
	v_mov_b32_e32 v6, 0
	s_delay_alu instid0(VALU_DEP_3) | instskip(NEXT) | instid1(VALU_DEP_1)
	v_cmp_eq_u32_e64 s0, s0, v31
	s_and_saveexec_b32 s1, s0
	s_cbranch_execz .LBB14_89
; %bb.84:                               ;   in Loop: Header=BB14_34 Depth=2
	global_load_b64 v[29:30], v1, s[10:11] offset:24 glc
	s_waitcnt vmcnt(0)
	buffer_gl1_inv
	buffer_gl0_inv
	s_clause 0x1
	global_load_b64 v[5:6], v1, s[10:11] offset:40
	global_load_b64 v[27:28], v1, s[10:11]
	s_mov_b32 s5, exec_lo
	s_waitcnt vmcnt(1)
	v_and_b32_e32 v0, v6, v30
	v_and_b32_e32 v5, v5, v29
	s_delay_alu instid0(VALU_DEP_2) | instskip(NEXT) | instid1(VALU_DEP_2)
	v_mul_lo_u32 v0, v0, 24
	v_mul_hi_u32 v6, v5, 24
	v_mul_lo_u32 v5, v5, 24
	s_delay_alu instid0(VALU_DEP_2) | instskip(SKIP_1) | instid1(VALU_DEP_2)
	v_add_nc_u32_e32 v0, v6, v0
	s_waitcnt vmcnt(0)
	v_add_co_u32 v5, vcc_lo, v27, v5
	s_delay_alu instid0(VALU_DEP_2)
	v_add_co_ci_u32_e32 v6, vcc_lo, v28, v0, vcc_lo
	global_load_b64 v[27:28], v[5:6], off glc
	s_waitcnt vmcnt(0)
	global_atomic_cmpswap_b64 v[5:6], v1, v[27:30], s[10:11] offset:24 glc
	s_waitcnt vmcnt(0)
	buffer_gl1_inv
	buffer_gl0_inv
	v_cmpx_ne_u64_e64 v[5:6], v[29:30]
	s_cbranch_execz .LBB14_88
; %bb.85:                               ;   in Loop: Header=BB14_34 Depth=2
	s_mov_b32 s16, 0
	.p2align	6
.LBB14_86:                              ;   Parent Loop BB14_4 Depth=1
                                        ;     Parent Loop BB14_34 Depth=2
                                        ; =>    This Inner Loop Header: Depth=3
	s_sleep 1
	s_clause 0x1
	global_load_b64 v[27:28], v1, s[10:11] offset:40
	global_load_b64 v[34:35], v1, s[10:11]
	v_dual_mov_b32 v30, v6 :: v_dual_mov_b32 v29, v5
	s_waitcnt vmcnt(1)
	s_delay_alu instid0(VALU_DEP_1) | instskip(SKIP_1) | instid1(VALU_DEP_1)
	v_and_b32_e32 v0, v27, v29
	s_waitcnt vmcnt(0)
	v_mad_u64_u32 v[5:6], null, v0, 24, v[34:35]
	v_and_b32_e32 v34, v28, v30
	s_delay_alu instid0(VALU_DEP_2) | instskip(NEXT) | instid1(VALU_DEP_1)
	v_mov_b32_e32 v0, v6
	v_mad_u64_u32 v[27:28], null, v34, 24, v[0:1]
	s_delay_alu instid0(VALU_DEP_1)
	v_mov_b32_e32 v6, v27
	global_load_b64 v[27:28], v[5:6], off glc
	s_waitcnt vmcnt(0)
	global_atomic_cmpswap_b64 v[5:6], v1, v[27:30], s[10:11] offset:24 glc
	s_waitcnt vmcnt(0)
	buffer_gl1_inv
	buffer_gl0_inv
	v_cmp_eq_u64_e32 vcc_lo, v[5:6], v[29:30]
	s_or_b32 s16, vcc_lo, s16
	s_delay_alu instid0(SALU_CYCLE_1)
	s_and_not1_b32 exec_lo, exec_lo, s16
	s_cbranch_execnz .LBB14_86
; %bb.87:                               ;   in Loop: Header=BB14_34 Depth=2
	s_or_b32 exec_lo, exec_lo, s16
.LBB14_88:                              ;   in Loop: Header=BB14_34 Depth=2
	s_delay_alu instid0(SALU_CYCLE_1)
	s_or_b32 exec_lo, exec_lo, s5
.LBB14_89:                              ;   in Loop: Header=BB14_34 Depth=2
	s_delay_alu instid0(SALU_CYCLE_1)
	s_or_b32 exec_lo, exec_lo, s1
	s_clause 0x1
	global_load_b64 v[34:35], v1, s[10:11] offset:40
	global_load_b128 v[27:30], v1, s[10:11]
	v_readfirstlane_b32 s16, v5
	v_readfirstlane_b32 s17, v6
	s_mov_b32 s1, exec_lo
	s_waitcnt vmcnt(1)
	v_readfirstlane_b32 s18, v34
	v_readfirstlane_b32 s19, v35
	s_delay_alu instid0(VALU_DEP_1) | instskip(NEXT) | instid1(SALU_CYCLE_1)
	s_and_b64 s[18:19], s[16:17], s[18:19]
	s_mul_i32 s5, s19, 24
	s_mul_hi_u32 s23, s18, 24
	s_mul_i32 s24, s18, 24
	s_add_i32 s23, s23, s5
	s_waitcnt vmcnt(0)
	v_add_co_u32 v5, vcc_lo, v27, s24
	v_add_co_ci_u32_e32 v6, vcc_lo, s23, v28, vcc_lo
	s_and_saveexec_b32 s5, s0
	s_cbranch_execz .LBB14_91
; %bb.90:                               ;   in Loop: Header=BB14_34 Depth=2
	v_mov_b32_e32 v0, s1
	global_store_b128 v[5:6], v[0:3], off offset:8
.LBB14_91:                              ;   in Loop: Header=BB14_34 Depth=2
	s_or_b32 exec_lo, exec_lo, s5
	s_lshl_b64 s[18:19], s[18:19], 12
	v_cmp_gt_u64_e64 vcc_lo, s[12:13], 56
	v_or_b32_e32 v0, 0, v12
	v_or_b32_e32 v34, v11, v7
	v_add_co_u32 v29, s1, v29, s18
	s_delay_alu instid0(VALU_DEP_1)
	v_add_co_ci_u32_e64 v30, s1, s19, v30, s1
	s_lshl_b32 s1, s14, 2
	v_cndmask_b32_e32 v12, v0, v12, vcc_lo
	v_cndmask_b32_e32 v0, v34, v11, vcc_lo
	s_add_i32 s1, s1, 28
	v_readfirstlane_b32 s18, v29
	s_and_b32 s1, s1, 0x1e0
	v_readfirstlane_b32 s19, v30
	v_and_or_b32 v11, 0xffffff1f, v0, s1
	s_clause 0x3
	global_store_b128 v32, v[11:14], s[18:19]
	global_store_b128 v32, v[15:18], s[18:19] offset:16
	global_store_b128 v32, v[19:22], s[18:19] offset:32
	;; [unrolled: 1-line block ×3, first 2 shown]
	s_and_saveexec_b32 s1, s0
	s_cbranch_execz .LBB14_99
; %bb.92:                               ;   in Loop: Header=BB14_34 Depth=2
	s_clause 0x1
	global_load_b64 v[19:20], v1, s[10:11] offset:32 glc
	global_load_b64 v[11:12], v1, s[10:11] offset:40
	v_dual_mov_b32 v17, s16 :: v_dual_mov_b32 v18, s17
	s_waitcnt vmcnt(0)
	v_readfirstlane_b32 s18, v11
	v_readfirstlane_b32 s19, v12
	s_delay_alu instid0(VALU_DEP_1) | instskip(NEXT) | instid1(SALU_CYCLE_1)
	s_and_b64 s[18:19], s[18:19], s[16:17]
	s_mul_i32 s5, s19, 24
	s_mul_hi_u32 s19, s18, 24
	s_mul_i32 s18, s18, 24
	s_add_i32 s19, s19, s5
	v_add_co_u32 v15, vcc_lo, v27, s18
	v_add_co_ci_u32_e32 v16, vcc_lo, s19, v28, vcc_lo
	s_mov_b32 s5, exec_lo
	global_store_b64 v[15:16], v[19:20], off
	s_waitcnt_vscnt null, 0x0
	global_atomic_cmpswap_b64 v[13:14], v1, v[17:20], s[10:11] offset:32 glc
	s_waitcnt vmcnt(0)
	v_cmpx_ne_u64_e64 v[13:14], v[19:20]
	s_cbranch_execz .LBB14_95
; %bb.93:                               ;   in Loop: Header=BB14_34 Depth=2
	s_mov_b32 s18, 0
.LBB14_94:                              ;   Parent Loop BB14_4 Depth=1
                                        ;     Parent Loop BB14_34 Depth=2
                                        ; =>    This Inner Loop Header: Depth=3
	v_dual_mov_b32 v11, s16 :: v_dual_mov_b32 v12, s17
	s_sleep 1
	global_store_b64 v[15:16], v[13:14], off
	s_waitcnt_vscnt null, 0x0
	global_atomic_cmpswap_b64 v[11:12], v1, v[11:14], s[10:11] offset:32 glc
	s_waitcnt vmcnt(0)
	v_cmp_eq_u64_e32 vcc_lo, v[11:12], v[13:14]
	v_dual_mov_b32 v14, v12 :: v_dual_mov_b32 v13, v11
	s_or_b32 s18, vcc_lo, s18
	s_delay_alu instid0(SALU_CYCLE_1)
	s_and_not1_b32 exec_lo, exec_lo, s18
	s_cbranch_execnz .LBB14_94
.LBB14_95:                              ;   in Loop: Header=BB14_34 Depth=2
	s_or_b32 exec_lo, exec_lo, s5
	global_load_b64 v[11:12], v1, s[10:11] offset:16
	s_mov_b32 s18, exec_lo
	s_mov_b32 s5, exec_lo
	v_mbcnt_lo_u32_b32 v0, s18, 0
	s_delay_alu instid0(VALU_DEP_1)
	v_cmpx_eq_u32_e32 0, v0
	s_cbranch_execz .LBB14_97
; %bb.96:                               ;   in Loop: Header=BB14_34 Depth=2
	s_bcnt1_i32_b32 s18, s18
	s_delay_alu instid0(SALU_CYCLE_1)
	v_mov_b32_e32 v0, s18
	s_waitcnt vmcnt(0)
	global_atomic_add_u64 v[11:12], v[0:1], off offset:8
.LBB14_97:                              ;   in Loop: Header=BB14_34 Depth=2
	s_or_b32 exec_lo, exec_lo, s5
	s_waitcnt vmcnt(0)
	global_load_b64 v[13:14], v[11:12], off offset:16
	s_waitcnt vmcnt(0)
	v_cmp_eq_u64_e32 vcc_lo, 0, v[13:14]
	s_cbranch_vccnz .LBB14_99
; %bb.98:                               ;   in Loop: Header=BB14_34 Depth=2
	global_load_b32 v0, v[11:12], off offset:24
	s_waitcnt vmcnt(0)
	v_and_b32_e32 v11, 0xffffff, v0
	s_waitcnt_vscnt null, 0x0
	global_store_b64 v[13:14], v[0:1], off
	v_readfirstlane_b32 m0, v11
	s_sendmsg sendmsg(MSG_INTERRUPT)
.LBB14_99:                              ;   in Loop: Header=BB14_34 Depth=2
	s_or_b32 exec_lo, exec_lo, s1
	v_add_co_u32 v11, vcc_lo, v29, v32
	v_add_co_ci_u32_e32 v12, vcc_lo, 0, v30, vcc_lo
	s_branch .LBB14_103
	.p2align	6
.LBB14_100:                             ;   in Loop: Header=BB14_103 Depth=3
	s_or_b32 exec_lo, exec_lo, s1
	s_delay_alu instid0(VALU_DEP_1) | instskip(NEXT) | instid1(VALU_DEP_1)
	v_readfirstlane_b32 s1, v0
	s_cmp_eq_u32 s1, 0
	s_cbranch_scc1 .LBB14_102
; %bb.101:                              ;   in Loop: Header=BB14_103 Depth=3
	s_sleep 1
	s_cbranch_execnz .LBB14_103
	s_branch .LBB14_105
	.p2align	6
.LBB14_102:                             ;   in Loop: Header=BB14_34 Depth=2
	s_branch .LBB14_105
.LBB14_103:                             ;   Parent Loop BB14_4 Depth=1
                                        ;     Parent Loop BB14_34 Depth=2
                                        ; =>    This Inner Loop Header: Depth=3
	v_mov_b32_e32 v0, 1
	s_and_saveexec_b32 s1, s0
	s_cbranch_execz .LBB14_100
; %bb.104:                              ;   in Loop: Header=BB14_103 Depth=3
	global_load_b32 v0, v[5:6], off offset:20 glc
	s_waitcnt vmcnt(0)
	buffer_gl1_inv
	buffer_gl0_inv
	v_and_b32_e32 v0, 1, v0
	s_branch .LBB14_100
.LBB14_105:                             ;   in Loop: Header=BB14_34 Depth=2
	global_load_b128 v[11:14], v[11:12], off
	s_and_saveexec_b32 s1, s0
	s_cbranch_execz .LBB14_33
; %bb.106:                              ;   in Loop: Header=BB14_34 Depth=2
	s_clause 0x2
	global_load_b64 v[5:6], v1, s[10:11] offset:40
	global_load_b64 v[17:18], v1, s[10:11] offset:24 glc
	global_load_b64 v[15:16], v1, s[10:11]
	s_waitcnt vmcnt(2)
	v_add_co_u32 v0, vcc_lo, v5, 1
	v_add_co_ci_u32_e32 v19, vcc_lo, 0, v6, vcc_lo
	s_delay_alu instid0(VALU_DEP_2) | instskip(NEXT) | instid1(VALU_DEP_2)
	v_add_co_u32 v13, vcc_lo, v0, s16
	v_add_co_ci_u32_e32 v14, vcc_lo, s17, v19, vcc_lo
	s_delay_alu instid0(VALU_DEP_1) | instskip(SKIP_1) | instid1(VALU_DEP_1)
	v_cmp_eq_u64_e32 vcc_lo, 0, v[13:14]
	v_dual_cndmask_b32 v14, v14, v19 :: v_dual_cndmask_b32 v13, v13, v0
	v_and_b32_e32 v0, v14, v6
	s_delay_alu instid0(VALU_DEP_2) | instskip(NEXT) | instid1(VALU_DEP_1)
	v_and_b32_e32 v5, v13, v5
	v_mul_hi_u32 v6, v5, 24
	v_mul_lo_u32 v5, v5, 24
	s_waitcnt vmcnt(0)
	s_delay_alu instid0(VALU_DEP_1) | instskip(SKIP_2) | instid1(VALU_DEP_1)
	v_add_co_u32 v5, vcc_lo, v15, v5
	v_mov_b32_e32 v15, v17
	v_mul_lo_u32 v0, v0, 24
	v_add_nc_u32_e32 v0, v6, v0
	s_delay_alu instid0(VALU_DEP_1)
	v_add_co_ci_u32_e32 v6, vcc_lo, v16, v0, vcc_lo
	v_mov_b32_e32 v16, v18
	global_store_b64 v[5:6], v[17:18], off
	s_waitcnt_vscnt null, 0x0
	global_atomic_cmpswap_b64 v[15:16], v1, v[13:16], s[10:11] offset:24 glc
	s_waitcnt vmcnt(0)
	v_cmp_ne_u64_e32 vcc_lo, v[15:16], v[17:18]
	s_and_b32 exec_lo, exec_lo, vcc_lo
	s_cbranch_execz .LBB14_33
; %bb.107:                              ;   in Loop: Header=BB14_34 Depth=2
	s_mov_b32 s0, 0
.LBB14_108:                             ;   Parent Loop BB14_4 Depth=1
                                        ;     Parent Loop BB14_34 Depth=2
                                        ; =>    This Inner Loop Header: Depth=3
	s_sleep 1
	global_store_b64 v[5:6], v[15:16], off
	s_waitcnt_vscnt null, 0x0
	global_atomic_cmpswap_b64 v[17:18], v1, v[13:16], s[10:11] offset:24 glc
	s_waitcnt vmcnt(0)
	v_cmp_eq_u64_e32 vcc_lo, v[17:18], v[15:16]
	v_dual_mov_b32 v15, v17 :: v_dual_mov_b32 v16, v18
	s_or_b32 s0, vcc_lo, s0
	s_delay_alu instid0(SALU_CYCLE_1)
	s_and_not1_b32 exec_lo, exec_lo, s0
	s_cbranch_execnz .LBB14_108
	s_branch .LBB14_33
.LBB14_109:                             ;   in Loop: Header=BB14_4 Depth=1
	s_branch .LBB14_138
.LBB14_110:                             ;   in Loop: Header=BB14_4 Depth=1
                                        ; implicit-def: $vgpr11_vgpr12
	s_cbranch_execz .LBB14_138
; %bb.111:                              ;   in Loop: Header=BB14_4 Depth=1
	v_readfirstlane_b32 s0, v31
	v_mov_b32_e32 v5, 0
	v_mov_b32_e32 v6, 0
	s_delay_alu instid0(VALU_DEP_3) | instskip(NEXT) | instid1(VALU_DEP_1)
	v_cmp_eq_u32_e64 s0, s0, v31
	s_and_saveexec_b32 s1, s0
	s_cbranch_execz .LBB14_117
; %bb.112:                              ;   in Loop: Header=BB14_4 Depth=1
	global_load_b64 v[13:14], v1, s[10:11] offset:24 glc
	s_waitcnt vmcnt(0)
	buffer_gl1_inv
	buffer_gl0_inv
	s_clause 0x1
	global_load_b64 v[5:6], v1, s[10:11] offset:40
	global_load_b64 v[11:12], v1, s[10:11]
	s_mov_b32 s5, exec_lo
	s_waitcnt vmcnt(1)
	v_and_b32_e32 v0, v6, v14
	v_and_b32_e32 v5, v5, v13
	s_delay_alu instid0(VALU_DEP_2) | instskip(NEXT) | instid1(VALU_DEP_2)
	v_mul_lo_u32 v0, v0, 24
	v_mul_hi_u32 v6, v5, 24
	v_mul_lo_u32 v5, v5, 24
	s_delay_alu instid0(VALU_DEP_2) | instskip(SKIP_1) | instid1(VALU_DEP_2)
	v_add_nc_u32_e32 v0, v6, v0
	s_waitcnt vmcnt(0)
	v_add_co_u32 v5, vcc_lo, v11, v5
	s_delay_alu instid0(VALU_DEP_2)
	v_add_co_ci_u32_e32 v6, vcc_lo, v12, v0, vcc_lo
	global_load_b64 v[11:12], v[5:6], off glc
	s_waitcnt vmcnt(0)
	global_atomic_cmpswap_b64 v[5:6], v1, v[11:14], s[10:11] offset:24 glc
	s_waitcnt vmcnt(0)
	buffer_gl1_inv
	buffer_gl0_inv
	v_cmpx_ne_u64_e64 v[5:6], v[13:14]
	s_cbranch_execz .LBB14_116
; %bb.113:                              ;   in Loop: Header=BB14_4 Depth=1
	s_mov_b32 s6, 0
	.p2align	6
.LBB14_114:                             ;   Parent Loop BB14_4 Depth=1
                                        ; =>  This Inner Loop Header: Depth=2
	s_sleep 1
	s_clause 0x1
	global_load_b64 v[11:12], v1, s[10:11] offset:40
	global_load_b64 v[15:16], v1, s[10:11]
	v_dual_mov_b32 v14, v6 :: v_dual_mov_b32 v13, v5
	s_waitcnt vmcnt(1)
	s_delay_alu instid0(VALU_DEP_1) | instskip(SKIP_1) | instid1(VALU_DEP_1)
	v_and_b32_e32 v0, v11, v13
	s_waitcnt vmcnt(0)
	v_mad_u64_u32 v[5:6], null, v0, 24, v[15:16]
	s_delay_alu instid0(VALU_DEP_1) | instskip(NEXT) | instid1(VALU_DEP_1)
	v_dual_mov_b32 v0, v6 :: v_dual_and_b32 v11, v12, v14
	v_mad_u64_u32 v[6:7], null, v11, 24, v[0:1]
	global_load_b64 v[11:12], v[5:6], off glc
	s_waitcnt vmcnt(0)
	global_atomic_cmpswap_b64 v[5:6], v1, v[11:14], s[10:11] offset:24 glc
	s_waitcnt vmcnt(0)
	buffer_gl1_inv
	buffer_gl0_inv
	v_cmp_eq_u64_e32 vcc_lo, v[5:6], v[13:14]
	s_or_b32 s6, vcc_lo, s6
	s_delay_alu instid0(SALU_CYCLE_1)
	s_and_not1_b32 exec_lo, exec_lo, s6
	s_cbranch_execnz .LBB14_114
; %bb.115:                              ;   in Loop: Header=BB14_4 Depth=1
	s_or_b32 exec_lo, exec_lo, s6
.LBB14_116:                             ;   in Loop: Header=BB14_4 Depth=1
	s_delay_alu instid0(SALU_CYCLE_1)
	s_or_b32 exec_lo, exec_lo, s5
.LBB14_117:                             ;   in Loop: Header=BB14_4 Depth=1
	s_delay_alu instid0(SALU_CYCLE_1)
	s_or_b32 exec_lo, exec_lo, s1
	s_clause 0x1
	global_load_b64 v[11:12], v1, s[10:11] offset:40
	global_load_b128 v[13:16], v1, s[10:11]
	v_readfirstlane_b32 s12, v5
	v_readfirstlane_b32 s13, v6
	s_mov_b32 s1, exec_lo
	s_waitcnt vmcnt(1)
	v_readfirstlane_b32 s6, v11
	v_readfirstlane_b32 s7, v12
	s_delay_alu instid0(VALU_DEP_1) | instskip(NEXT) | instid1(SALU_CYCLE_1)
	s_and_b64 s[6:7], s[12:13], s[6:7]
	s_mul_i32 s5, s7, 24
	s_mul_hi_u32 s14, s6, 24
	s_mul_i32 s15, s6, 24
	s_add_i32 s14, s14, s5
	s_waitcnt vmcnt(0)
	v_add_co_u32 v5, vcc_lo, v13, s15
	v_add_co_ci_u32_e32 v6, vcc_lo, s14, v14, vcc_lo
	s_and_saveexec_b32 s5, s0
	s_cbranch_execz .LBB14_119
; %bb.118:                              ;   in Loop: Header=BB14_4 Depth=1
	v_mov_b32_e32 v0, s1
	global_store_b128 v[5:6], v[0:3], off offset:8
.LBB14_119:                             ;   in Loop: Header=BB14_4 Depth=1
	s_or_b32 exec_lo, exec_lo, s5
	s_lshl_b64 s[6:7], s[6:7], 12
	s_mov_b32 s5, s4
	v_add_co_u32 v7, vcc_lo, v15, s6
	v_add_co_ci_u32_e32 v15, vcc_lo, s7, v16, vcc_lo
	s_mov_b32 s7, s4
	s_mov_b32 s6, s4
	v_and_or_b32 v9, 0xffffff1f, v9, 32
	v_mov_b32_e32 v11, v1
	v_dual_mov_b32 v12, v1 :: v_dual_mov_b32 v19, s7
	v_readfirstlane_b32 s14, v7
	v_readfirstlane_b32 s15, v15
	v_dual_mov_b32 v18, s6 :: v_dual_mov_b32 v17, s5
	v_mov_b32_e32 v16, s4
	s_clause 0x3
	global_store_b128 v32, v[9:12], s[14:15]
	global_store_b128 v32, v[16:19], s[14:15] offset:16
	global_store_b128 v32, v[16:19], s[14:15] offset:32
	;; [unrolled: 1-line block ×3, first 2 shown]
	s_and_saveexec_b32 s1, s0
	s_cbranch_execz .LBB14_127
; %bb.120:                              ;   in Loop: Header=BB14_4 Depth=1
	s_clause 0x1
	global_load_b64 v[18:19], v1, s[10:11] offset:32 glc
	global_load_b64 v[9:10], v1, s[10:11] offset:40
	v_dual_mov_b32 v16, s12 :: v_dual_mov_b32 v17, s13
	s_waitcnt vmcnt(0)
	v_readfirstlane_b32 s6, v9
	v_readfirstlane_b32 s7, v10
	s_delay_alu instid0(VALU_DEP_1) | instskip(NEXT) | instid1(SALU_CYCLE_1)
	s_and_b64 s[6:7], s[6:7], s[12:13]
	s_mul_i32 s5, s7, 24
	s_mul_hi_u32 s7, s6, 24
	s_mul_i32 s6, s6, 24
	s_add_i32 s7, s7, s5
	v_add_co_u32 v13, vcc_lo, v13, s6
	v_add_co_ci_u32_e32 v14, vcc_lo, s7, v14, vcc_lo
	s_mov_b32 s5, exec_lo
	global_store_b64 v[13:14], v[18:19], off
	s_waitcnt_vscnt null, 0x0
	global_atomic_cmpswap_b64 v[11:12], v1, v[16:19], s[10:11] offset:32 glc
	s_waitcnt vmcnt(0)
	v_cmpx_ne_u64_e64 v[11:12], v[18:19]
	s_cbranch_execz .LBB14_123
; %bb.121:                              ;   in Loop: Header=BB14_4 Depth=1
	s_mov_b32 s6, 0
.LBB14_122:                             ;   Parent Loop BB14_4 Depth=1
                                        ; =>  This Inner Loop Header: Depth=2
	v_dual_mov_b32 v9, s12 :: v_dual_mov_b32 v10, s13
	s_sleep 1
	global_store_b64 v[13:14], v[11:12], off
	s_waitcnt_vscnt null, 0x0
	global_atomic_cmpswap_b64 v[9:10], v1, v[9:12], s[10:11] offset:32 glc
	s_waitcnt vmcnt(0)
	v_cmp_eq_u64_e32 vcc_lo, v[9:10], v[11:12]
	v_dual_mov_b32 v12, v10 :: v_dual_mov_b32 v11, v9
	s_or_b32 s6, vcc_lo, s6
	s_delay_alu instid0(SALU_CYCLE_1)
	s_and_not1_b32 exec_lo, exec_lo, s6
	s_cbranch_execnz .LBB14_122
.LBB14_123:                             ;   in Loop: Header=BB14_4 Depth=1
	s_or_b32 exec_lo, exec_lo, s5
	global_load_b64 v[9:10], v1, s[10:11] offset:16
	s_mov_b32 s6, exec_lo
	s_mov_b32 s5, exec_lo
	v_mbcnt_lo_u32_b32 v0, s6, 0
	s_delay_alu instid0(VALU_DEP_1)
	v_cmpx_eq_u32_e32 0, v0
	s_cbranch_execz .LBB14_125
; %bb.124:                              ;   in Loop: Header=BB14_4 Depth=1
	s_bcnt1_i32_b32 s6, s6
	s_delay_alu instid0(SALU_CYCLE_1)
	v_mov_b32_e32 v0, s6
	s_waitcnt vmcnt(0)
	global_atomic_add_u64 v[9:10], v[0:1], off offset:8
.LBB14_125:                             ;   in Loop: Header=BB14_4 Depth=1
	s_or_b32 exec_lo, exec_lo, s5
	s_waitcnt vmcnt(0)
	global_load_b64 v[11:12], v[9:10], off offset:16
	s_waitcnt vmcnt(0)
	v_cmp_eq_u64_e32 vcc_lo, 0, v[11:12]
	s_cbranch_vccnz .LBB14_127
; %bb.126:                              ;   in Loop: Header=BB14_4 Depth=1
	global_load_b32 v0, v[9:10], off offset:24
	s_waitcnt vmcnt(0)
	v_and_b32_e32 v9, 0xffffff, v0
	s_waitcnt_vscnt null, 0x0
	global_store_b64 v[11:12], v[0:1], off
	v_readfirstlane_b32 m0, v9
	s_sendmsg sendmsg(MSG_INTERRUPT)
.LBB14_127:                             ;   in Loop: Header=BB14_4 Depth=1
	s_or_b32 exec_lo, exec_lo, s1
	v_add_co_u32 v9, vcc_lo, v7, v32
	v_add_co_ci_u32_e32 v10, vcc_lo, 0, v15, vcc_lo
	s_branch .LBB14_131
	.p2align	6
.LBB14_128:                             ;   in Loop: Header=BB14_131 Depth=2
	s_or_b32 exec_lo, exec_lo, s1
	s_delay_alu instid0(VALU_DEP_1) | instskip(NEXT) | instid1(VALU_DEP_1)
	v_readfirstlane_b32 s1, v0
	s_cmp_eq_u32 s1, 0
	s_cbranch_scc1 .LBB14_130
; %bb.129:                              ;   in Loop: Header=BB14_131 Depth=2
	s_sleep 1
	s_cbranch_execnz .LBB14_131
	s_branch .LBB14_133
	.p2align	6
.LBB14_130:                             ;   in Loop: Header=BB14_4 Depth=1
	s_branch .LBB14_133
.LBB14_131:                             ;   Parent Loop BB14_4 Depth=1
                                        ; =>  This Inner Loop Header: Depth=2
	v_mov_b32_e32 v0, 1
	s_and_saveexec_b32 s1, s0
	s_cbranch_execz .LBB14_128
; %bb.132:                              ;   in Loop: Header=BB14_131 Depth=2
	global_load_b32 v0, v[5:6], off offset:20 glc
	s_waitcnt vmcnt(0)
	buffer_gl1_inv
	buffer_gl0_inv
	v_and_b32_e32 v0, 1, v0
	s_branch .LBB14_128
.LBB14_133:                             ;   in Loop: Header=BB14_4 Depth=1
	global_load_b64 v[11:12], v[9:10], off
	s_and_saveexec_b32 s1, s0
	s_cbranch_execz .LBB14_137
; %bb.134:                              ;   in Loop: Header=BB14_4 Depth=1
	s_clause 0x2
	global_load_b64 v[5:6], v1, s[10:11] offset:40
	global_load_b64 v[9:10], v1, s[10:11] offset:24 glc
	global_load_b64 v[15:16], v1, s[10:11]
	s_waitcnt vmcnt(2)
	v_add_co_u32 v0, vcc_lo, v5, 1
	v_add_co_ci_u32_e32 v7, vcc_lo, 0, v6, vcc_lo
	s_delay_alu instid0(VALU_DEP_2) | instskip(NEXT) | instid1(VALU_DEP_2)
	v_add_co_u32 v13, vcc_lo, v0, s12
	v_add_co_ci_u32_e32 v14, vcc_lo, s13, v7, vcc_lo
	s_delay_alu instid0(VALU_DEP_1) | instskip(SKIP_1) | instid1(VALU_DEP_1)
	v_cmp_eq_u64_e32 vcc_lo, 0, v[13:14]
	v_dual_cndmask_b32 v14, v14, v7 :: v_dual_cndmask_b32 v13, v13, v0
	v_and_b32_e32 v0, v14, v6
	s_delay_alu instid0(VALU_DEP_2) | instskip(NEXT) | instid1(VALU_DEP_1)
	v_and_b32_e32 v5, v13, v5
	v_mul_hi_u32 v6, v5, 24
	v_mul_lo_u32 v5, v5, 24
	s_waitcnt vmcnt(0)
	s_delay_alu instid0(VALU_DEP_1) | instskip(SKIP_2) | instid1(VALU_DEP_1)
	v_add_co_u32 v5, vcc_lo, v15, v5
	v_mov_b32_e32 v15, v9
	v_mul_lo_u32 v0, v0, 24
	v_add_nc_u32_e32 v0, v6, v0
	s_delay_alu instid0(VALU_DEP_1)
	v_add_co_ci_u32_e32 v6, vcc_lo, v16, v0, vcc_lo
	v_mov_b32_e32 v16, v10
	global_store_b64 v[5:6], v[9:10], off
	s_waitcnt_vscnt null, 0x0
	global_atomic_cmpswap_b64 v[15:16], v1, v[13:16], s[10:11] offset:24 glc
	s_waitcnt vmcnt(0)
	v_cmp_ne_u64_e32 vcc_lo, v[15:16], v[9:10]
	s_and_b32 exec_lo, exec_lo, vcc_lo
	s_cbranch_execz .LBB14_137
; %bb.135:                              ;   in Loop: Header=BB14_4 Depth=1
	s_mov_b32 s0, 0
.LBB14_136:                             ;   Parent Loop BB14_4 Depth=1
                                        ; =>  This Inner Loop Header: Depth=2
	s_sleep 1
	global_store_b64 v[5:6], v[15:16], off
	s_waitcnt_vscnt null, 0x0
	global_atomic_cmpswap_b64 v[9:10], v1, v[13:16], s[10:11] offset:24 glc
	s_waitcnt vmcnt(0)
	v_cmp_eq_u64_e32 vcc_lo, v[9:10], v[15:16]
	v_dual_mov_b32 v16, v10 :: v_dual_mov_b32 v15, v9
	s_or_b32 s0, vcc_lo, s0
	s_delay_alu instid0(SALU_CYCLE_1)
	s_and_not1_b32 exec_lo, exec_lo, s0
	s_cbranch_execnz .LBB14_136
.LBB14_137:                             ;   in Loop: Header=BB14_4 Depth=1
	s_or_b32 exec_lo, exec_lo, s1
.LBB14_138:                             ;   in Loop: Header=BB14_4 Depth=1
	v_readfirstlane_b32 s0, v31
	v_mov_b32_e32 v5, 0
	v_mov_b32_e32 v6, 0
	s_delay_alu instid0(VALU_DEP_3) | instskip(NEXT) | instid1(VALU_DEP_1)
	v_cmp_eq_u32_e64 s0, s0, v31
	s_and_saveexec_b32 s1, s0
	s_cbranch_execz .LBB14_144
; %bb.139:                              ;   in Loop: Header=BB14_4 Depth=1
	global_load_b64 v[15:16], v1, s[10:11] offset:24 glc
	s_waitcnt vmcnt(0)
	buffer_gl1_inv
	buffer_gl0_inv
	s_clause 0x1
	global_load_b64 v[5:6], v1, s[10:11] offset:40
	global_load_b64 v[9:10], v1, s[10:11]
	s_mov_b32 s5, exec_lo
	s_waitcnt vmcnt(1)
	v_and_b32_e32 v0, v6, v16
	v_and_b32_e32 v5, v5, v15
	s_delay_alu instid0(VALU_DEP_2) | instskip(NEXT) | instid1(VALU_DEP_2)
	v_mul_lo_u32 v0, v0, 24
	v_mul_hi_u32 v6, v5, 24
	v_mul_lo_u32 v5, v5, 24
	s_delay_alu instid0(VALU_DEP_2) | instskip(SKIP_1) | instid1(VALU_DEP_2)
	v_add_nc_u32_e32 v0, v6, v0
	s_waitcnt vmcnt(0)
	v_add_co_u32 v5, vcc_lo, v9, v5
	s_delay_alu instid0(VALU_DEP_2)
	v_add_co_ci_u32_e32 v6, vcc_lo, v10, v0, vcc_lo
	global_load_b64 v[13:14], v[5:6], off glc
	s_waitcnt vmcnt(0)
	global_atomic_cmpswap_b64 v[5:6], v1, v[13:16], s[10:11] offset:24 glc
	s_waitcnt vmcnt(0)
	buffer_gl1_inv
	buffer_gl0_inv
	v_cmpx_ne_u64_e64 v[5:6], v[15:16]
	s_cbranch_execz .LBB14_143
; %bb.140:                              ;   in Loop: Header=BB14_4 Depth=1
	s_mov_b32 s6, 0
	.p2align	6
.LBB14_141:                             ;   Parent Loop BB14_4 Depth=1
                                        ; =>  This Inner Loop Header: Depth=2
	s_sleep 1
	s_clause 0x1
	global_load_b64 v[9:10], v1, s[10:11] offset:40
	global_load_b64 v[13:14], v1, s[10:11]
	v_dual_mov_b32 v16, v6 :: v_dual_mov_b32 v15, v5
	s_waitcnt vmcnt(1)
	s_delay_alu instid0(VALU_DEP_1) | instskip(NEXT) | instid1(VALU_DEP_2)
	v_and_b32_e32 v0, v9, v15
	v_and_b32_e32 v9, v10, v16
	s_waitcnt vmcnt(0)
	s_delay_alu instid0(VALU_DEP_2) | instskip(NEXT) | instid1(VALU_DEP_1)
	v_mad_u64_u32 v[5:6], null, v0, 24, v[13:14]
	v_mov_b32_e32 v0, v6
	s_delay_alu instid0(VALU_DEP_1)
	v_mad_u64_u32 v[6:7], null, v9, 24, v[0:1]
	global_load_b64 v[13:14], v[5:6], off glc
	s_waitcnt vmcnt(0)
	global_atomic_cmpswap_b64 v[5:6], v1, v[13:16], s[10:11] offset:24 glc
	s_waitcnt vmcnt(0)
	buffer_gl1_inv
	buffer_gl0_inv
	v_cmp_eq_u64_e32 vcc_lo, v[5:6], v[15:16]
	s_or_b32 s6, vcc_lo, s6
	s_delay_alu instid0(SALU_CYCLE_1)
	s_and_not1_b32 exec_lo, exec_lo, s6
	s_cbranch_execnz .LBB14_141
; %bb.142:                              ;   in Loop: Header=BB14_4 Depth=1
	s_or_b32 exec_lo, exec_lo, s6
.LBB14_143:                             ;   in Loop: Header=BB14_4 Depth=1
	s_delay_alu instid0(SALU_CYCLE_1)
	s_or_b32 exec_lo, exec_lo, s5
.LBB14_144:                             ;   in Loop: Header=BB14_4 Depth=1
	s_delay_alu instid0(SALU_CYCLE_1)
	s_or_b32 exec_lo, exec_lo, s1
	s_clause 0x1
	global_load_b64 v[9:10], v1, s[10:11] offset:40
	global_load_b128 v[15:18], v1, s[10:11]
	v_readfirstlane_b32 s12, v5
	v_readfirstlane_b32 s13, v6
	s_mov_b32 s1, exec_lo
	s_waitcnt vmcnt(1)
	v_readfirstlane_b32 s6, v9
	v_readfirstlane_b32 s7, v10
	s_delay_alu instid0(VALU_DEP_1) | instskip(NEXT) | instid1(SALU_CYCLE_1)
	s_and_b64 s[6:7], s[12:13], s[6:7]
	s_mul_i32 s5, s7, 24
	s_mul_hi_u32 s14, s6, 24
	s_mul_i32 s15, s6, 24
	s_add_i32 s14, s14, s5
	s_waitcnt vmcnt(0)
	v_add_co_u32 v5, vcc_lo, v15, s15
	v_add_co_ci_u32_e32 v6, vcc_lo, s14, v16, vcc_lo
	s_and_saveexec_b32 s5, s0
	s_cbranch_execz .LBB14_146
; %bb.145:                              ;   in Loop: Header=BB14_4 Depth=1
	v_mov_b32_e32 v0, s1
	global_store_b128 v[5:6], v[0:3], off offset:8
.LBB14_146:                             ;   in Loop: Header=BB14_4 Depth=1
	s_or_b32 exec_lo, exec_lo, s5
	s_lshl_b64 s[6:7], s[6:7], 12
	s_mov_b32 s5, s4
	v_add_co_u32 v7, vcc_lo, v17, s6
	v_add_co_ci_u32_e32 v17, vcc_lo, s7, v18, vcc_lo
	s_mov_b32 s7, s4
	s_mov_b32 s6, s4
	v_and_or_b32 v11, 0xffffff1f, v11, 32
	v_dual_mov_b32 v13, s21 :: v_dual_mov_b32 v14, v1
	v_readfirstlane_b32 s14, v7
	v_readfirstlane_b32 s15, v17
	v_dual_mov_b32 v21, s7 :: v_dual_mov_b32 v20, s6
	v_dual_mov_b32 v19, s5 :: v_dual_mov_b32 v18, s4
	s_clause 0x3
	global_store_b128 v32, v[11:14], s[14:15]
	global_store_b128 v32, v[18:21], s[14:15] offset:16
	global_store_b128 v32, v[18:21], s[14:15] offset:32
	;; [unrolled: 1-line block ×3, first 2 shown]
	s_and_saveexec_b32 s1, s0
	s_cbranch_execz .LBB14_154
; %bb.147:                              ;   in Loop: Header=BB14_4 Depth=1
	s_clause 0x1
	global_load_b64 v[20:21], v1, s[10:11] offset:32 glc
	global_load_b64 v[9:10], v1, s[10:11] offset:40
	v_dual_mov_b32 v18, s12 :: v_dual_mov_b32 v19, s13
	s_waitcnt vmcnt(0)
	v_readfirstlane_b32 s6, v9
	v_readfirstlane_b32 s7, v10
	s_delay_alu instid0(VALU_DEP_1) | instskip(NEXT) | instid1(SALU_CYCLE_1)
	s_and_b64 s[6:7], s[6:7], s[12:13]
	s_mul_i32 s5, s7, 24
	s_mul_hi_u32 s7, s6, 24
	s_mul_i32 s6, s6, 24
	s_add_i32 s7, s7, s5
	v_add_co_u32 v13, vcc_lo, v15, s6
	v_add_co_ci_u32_e32 v14, vcc_lo, s7, v16, vcc_lo
	s_mov_b32 s5, exec_lo
	global_store_b64 v[13:14], v[20:21], off
	s_waitcnt_vscnt null, 0x0
	global_atomic_cmpswap_b64 v[11:12], v1, v[18:21], s[10:11] offset:32 glc
	s_waitcnt vmcnt(0)
	v_cmpx_ne_u64_e64 v[11:12], v[20:21]
	s_cbranch_execz .LBB14_150
; %bb.148:                              ;   in Loop: Header=BB14_4 Depth=1
	s_mov_b32 s6, 0
.LBB14_149:                             ;   Parent Loop BB14_4 Depth=1
                                        ; =>  This Inner Loop Header: Depth=2
	v_dual_mov_b32 v9, s12 :: v_dual_mov_b32 v10, s13
	s_sleep 1
	global_store_b64 v[13:14], v[11:12], off
	s_waitcnt_vscnt null, 0x0
	global_atomic_cmpswap_b64 v[9:10], v1, v[9:12], s[10:11] offset:32 glc
	s_waitcnt vmcnt(0)
	v_cmp_eq_u64_e32 vcc_lo, v[9:10], v[11:12]
	v_dual_mov_b32 v12, v10 :: v_dual_mov_b32 v11, v9
	s_or_b32 s6, vcc_lo, s6
	s_delay_alu instid0(SALU_CYCLE_1)
	s_and_not1_b32 exec_lo, exec_lo, s6
	s_cbranch_execnz .LBB14_149
.LBB14_150:                             ;   in Loop: Header=BB14_4 Depth=1
	s_or_b32 exec_lo, exec_lo, s5
	global_load_b64 v[9:10], v1, s[10:11] offset:16
	s_mov_b32 s6, exec_lo
	s_mov_b32 s5, exec_lo
	v_mbcnt_lo_u32_b32 v0, s6, 0
	s_delay_alu instid0(VALU_DEP_1)
	v_cmpx_eq_u32_e32 0, v0
	s_cbranch_execz .LBB14_152
; %bb.151:                              ;   in Loop: Header=BB14_4 Depth=1
	s_bcnt1_i32_b32 s6, s6
	s_delay_alu instid0(SALU_CYCLE_1)
	v_mov_b32_e32 v0, s6
	s_waitcnt vmcnt(0)
	global_atomic_add_u64 v[9:10], v[0:1], off offset:8
.LBB14_152:                             ;   in Loop: Header=BB14_4 Depth=1
	s_or_b32 exec_lo, exec_lo, s5
	s_waitcnt vmcnt(0)
	global_load_b64 v[11:12], v[9:10], off offset:16
	s_waitcnt vmcnt(0)
	v_cmp_eq_u64_e32 vcc_lo, 0, v[11:12]
	s_cbranch_vccnz .LBB14_154
; %bb.153:                              ;   in Loop: Header=BB14_4 Depth=1
	global_load_b32 v0, v[9:10], off offset:24
	s_waitcnt vmcnt(0)
	v_and_b32_e32 v9, 0xffffff, v0
	s_waitcnt_vscnt null, 0x0
	global_store_b64 v[11:12], v[0:1], off
	v_readfirstlane_b32 m0, v9
	s_sendmsg sendmsg(MSG_INTERRUPT)
.LBB14_154:                             ;   in Loop: Header=BB14_4 Depth=1
	s_or_b32 exec_lo, exec_lo, s1
	v_add_co_u32 v9, vcc_lo, v7, v32
	v_add_co_ci_u32_e32 v10, vcc_lo, 0, v17, vcc_lo
	s_branch .LBB14_158
	.p2align	6
.LBB14_155:                             ;   in Loop: Header=BB14_158 Depth=2
	s_or_b32 exec_lo, exec_lo, s1
	s_delay_alu instid0(VALU_DEP_1) | instskip(NEXT) | instid1(VALU_DEP_1)
	v_readfirstlane_b32 s1, v0
	s_cmp_eq_u32 s1, 0
	s_cbranch_scc1 .LBB14_157
; %bb.156:                              ;   in Loop: Header=BB14_158 Depth=2
	s_sleep 1
	s_cbranch_execnz .LBB14_158
	s_branch .LBB14_160
	.p2align	6
.LBB14_157:                             ;   in Loop: Header=BB14_4 Depth=1
	s_branch .LBB14_160
.LBB14_158:                             ;   Parent Loop BB14_4 Depth=1
                                        ; =>  This Inner Loop Header: Depth=2
	v_mov_b32_e32 v0, 1
	s_and_saveexec_b32 s1, s0
	s_cbranch_execz .LBB14_155
; %bb.159:                              ;   in Loop: Header=BB14_158 Depth=2
	global_load_b32 v0, v[5:6], off offset:20 glc
	s_waitcnt vmcnt(0)
	buffer_gl1_inv
	buffer_gl0_inv
	v_and_b32_e32 v0, 1, v0
	s_branch .LBB14_155
.LBB14_160:                             ;   in Loop: Header=BB14_4 Depth=1
	global_load_b64 v[9:10], v[9:10], off
	s_and_saveexec_b32 s1, s0
	s_cbranch_execz .LBB14_164
; %bb.161:                              ;   in Loop: Header=BB14_4 Depth=1
	s_clause 0x2
	global_load_b64 v[5:6], v1, s[10:11] offset:40
	global_load_b64 v[15:16], v1, s[10:11] offset:24 glc
	global_load_b64 v[13:14], v1, s[10:11]
	s_waitcnt vmcnt(2)
	v_add_co_u32 v0, vcc_lo, v5, 1
	v_add_co_ci_u32_e32 v7, vcc_lo, 0, v6, vcc_lo
	s_delay_alu instid0(VALU_DEP_2) | instskip(NEXT) | instid1(VALU_DEP_2)
	v_add_co_u32 v11, vcc_lo, v0, s12
	v_add_co_ci_u32_e32 v12, vcc_lo, s13, v7, vcc_lo
	s_delay_alu instid0(VALU_DEP_1) | instskip(SKIP_1) | instid1(VALU_DEP_1)
	v_cmp_eq_u64_e32 vcc_lo, 0, v[11:12]
	v_dual_cndmask_b32 v12, v12, v7 :: v_dual_cndmask_b32 v11, v11, v0
	v_and_b32_e32 v0, v12, v6
	s_delay_alu instid0(VALU_DEP_2) | instskip(NEXT) | instid1(VALU_DEP_1)
	v_and_b32_e32 v5, v11, v5
	v_mul_hi_u32 v6, v5, 24
	v_mul_lo_u32 v5, v5, 24
	s_waitcnt vmcnt(0)
	s_delay_alu instid0(VALU_DEP_1) | instskip(SKIP_2) | instid1(VALU_DEP_1)
	v_add_co_u32 v5, vcc_lo, v13, v5
	v_mov_b32_e32 v13, v15
	v_mul_lo_u32 v0, v0, 24
	v_add_nc_u32_e32 v0, v6, v0
	s_delay_alu instid0(VALU_DEP_1)
	v_add_co_ci_u32_e32 v6, vcc_lo, v14, v0, vcc_lo
	v_mov_b32_e32 v14, v16
	global_store_b64 v[5:6], v[15:16], off
	s_waitcnt_vscnt null, 0x0
	global_atomic_cmpswap_b64 v[13:14], v1, v[11:14], s[10:11] offset:24 glc
	s_waitcnt vmcnt(0)
	v_cmp_ne_u64_e32 vcc_lo, v[13:14], v[15:16]
	s_and_b32 exec_lo, exec_lo, vcc_lo
	s_cbranch_execz .LBB14_164
; %bb.162:                              ;   in Loop: Header=BB14_4 Depth=1
	s_mov_b32 s0, 0
.LBB14_163:                             ;   Parent Loop BB14_4 Depth=1
                                        ; =>  This Inner Loop Header: Depth=2
	s_sleep 1
	global_store_b64 v[5:6], v[13:14], off
	s_waitcnt_vscnt null, 0x0
	global_atomic_cmpswap_b64 v[15:16], v1, v[11:14], s[10:11] offset:24 glc
	s_waitcnt vmcnt(0)
	v_cmp_eq_u64_e32 vcc_lo, v[15:16], v[13:14]
	v_dual_mov_b32 v13, v15 :: v_dual_mov_b32 v14, v16
	s_or_b32 s0, vcc_lo, s0
	s_delay_alu instid0(SALU_CYCLE_1)
	s_and_not1_b32 exec_lo, exec_lo, s0
	s_cbranch_execnz .LBB14_163
.LBB14_164:                             ;   in Loop: Header=BB14_4 Depth=1
	s_or_b32 exec_lo, exec_lo, s1
	v_readfirstlane_b32 s0, v31
	v_mov_b32_e32 v5, 0
	v_mov_b32_e32 v6, 0
	s_delay_alu instid0(VALU_DEP_3) | instskip(NEXT) | instid1(VALU_DEP_1)
	v_cmp_eq_u32_e64 s0, s0, v31
	s_and_saveexec_b32 s1, s0
	s_cbranch_execz .LBB14_170
; %bb.165:                              ;   in Loop: Header=BB14_4 Depth=1
	global_load_b64 v[13:14], v1, s[10:11] offset:24 glc
	s_waitcnt vmcnt(0)
	buffer_gl1_inv
	buffer_gl0_inv
	s_clause 0x1
	global_load_b64 v[5:6], v1, s[10:11] offset:40
	global_load_b64 v[11:12], v1, s[10:11]
	s_mov_b32 s5, exec_lo
	s_waitcnt vmcnt(1)
	v_and_b32_e32 v0, v6, v14
	v_and_b32_e32 v5, v5, v13
	s_delay_alu instid0(VALU_DEP_2) | instskip(NEXT) | instid1(VALU_DEP_2)
	v_mul_lo_u32 v0, v0, 24
	v_mul_hi_u32 v6, v5, 24
	v_mul_lo_u32 v5, v5, 24
	s_delay_alu instid0(VALU_DEP_2) | instskip(SKIP_1) | instid1(VALU_DEP_2)
	v_add_nc_u32_e32 v0, v6, v0
	s_waitcnt vmcnt(0)
	v_add_co_u32 v5, vcc_lo, v11, v5
	s_delay_alu instid0(VALU_DEP_2)
	v_add_co_ci_u32_e32 v6, vcc_lo, v12, v0, vcc_lo
	global_load_b64 v[11:12], v[5:6], off glc
	s_waitcnt vmcnt(0)
	global_atomic_cmpswap_b64 v[5:6], v1, v[11:14], s[10:11] offset:24 glc
	s_waitcnt vmcnt(0)
	buffer_gl1_inv
	buffer_gl0_inv
	v_cmpx_ne_u64_e64 v[5:6], v[13:14]
	s_cbranch_execz .LBB14_169
; %bb.166:                              ;   in Loop: Header=BB14_4 Depth=1
	s_mov_b32 s6, 0
	.p2align	6
.LBB14_167:                             ;   Parent Loop BB14_4 Depth=1
                                        ; =>  This Inner Loop Header: Depth=2
	s_sleep 1
	s_clause 0x1
	global_load_b64 v[11:12], v1, s[10:11] offset:40
	global_load_b64 v[15:16], v1, s[10:11]
	v_dual_mov_b32 v14, v6 :: v_dual_mov_b32 v13, v5
	s_waitcnt vmcnt(1)
	s_delay_alu instid0(VALU_DEP_1) | instskip(SKIP_1) | instid1(VALU_DEP_1)
	v_and_b32_e32 v0, v11, v13
	s_waitcnt vmcnt(0)
	v_mad_u64_u32 v[5:6], null, v0, 24, v[15:16]
	s_delay_alu instid0(VALU_DEP_1) | instskip(NEXT) | instid1(VALU_DEP_1)
	v_dual_mov_b32 v0, v6 :: v_dual_and_b32 v11, v12, v14
	v_mad_u64_u32 v[6:7], null, v11, 24, v[0:1]
	global_load_b64 v[11:12], v[5:6], off glc
	s_waitcnt vmcnt(0)
	global_atomic_cmpswap_b64 v[5:6], v1, v[11:14], s[10:11] offset:24 glc
	s_waitcnt vmcnt(0)
	buffer_gl1_inv
	buffer_gl0_inv
	v_cmp_eq_u64_e32 vcc_lo, v[5:6], v[13:14]
	s_or_b32 s6, vcc_lo, s6
	s_delay_alu instid0(SALU_CYCLE_1)
	s_and_not1_b32 exec_lo, exec_lo, s6
	s_cbranch_execnz .LBB14_167
; %bb.168:                              ;   in Loop: Header=BB14_4 Depth=1
	s_or_b32 exec_lo, exec_lo, s6
.LBB14_169:                             ;   in Loop: Header=BB14_4 Depth=1
	s_delay_alu instid0(SALU_CYCLE_1)
	s_or_b32 exec_lo, exec_lo, s5
.LBB14_170:                             ;   in Loop: Header=BB14_4 Depth=1
	s_delay_alu instid0(SALU_CYCLE_1)
	s_or_b32 exec_lo, exec_lo, s1
	s_clause 0x1
	global_load_b64 v[11:12], v1, s[10:11] offset:40
	global_load_b128 v[13:16], v1, s[10:11]
	v_readfirstlane_b32 s12, v5
	v_readfirstlane_b32 s13, v6
	s_mov_b32 s1, exec_lo
	s_waitcnt vmcnt(1)
	v_readfirstlane_b32 s6, v11
	v_readfirstlane_b32 s7, v12
	s_delay_alu instid0(VALU_DEP_1) | instskip(NEXT) | instid1(SALU_CYCLE_1)
	s_and_b64 s[6:7], s[12:13], s[6:7]
	s_mul_i32 s5, s7, 24
	s_mul_hi_u32 s14, s6, 24
	s_mul_i32 s15, s6, 24
	s_add_i32 s14, s14, s5
	s_waitcnt vmcnt(0)
	v_add_co_u32 v5, vcc_lo, v13, s15
	v_add_co_ci_u32_e32 v6, vcc_lo, s14, v14, vcc_lo
	s_and_saveexec_b32 s5, s0
	s_cbranch_execz .LBB14_172
; %bb.171:                              ;   in Loop: Header=BB14_4 Depth=1
	v_mov_b32_e32 v0, s1
	global_store_b128 v[5:6], v[0:3], off offset:8
.LBB14_172:                             ;   in Loop: Header=BB14_4 Depth=1
	s_or_b32 exec_lo, exec_lo, s5
	s_lshl_b64 s[6:7], s[6:7], 12
	s_mov_b32 s5, s4
	v_add_co_u32 v7, vcc_lo, v15, s6
	v_add_co_ci_u32_e32 v15, vcc_lo, s7, v16, vcc_lo
	s_mov_b32 s7, s4
	s_mov_b32 s6, s4
	v_dual_mov_b32 v12, v1 :: v_dual_and_b32 v11, 0xffff, v33
	v_and_or_b32 v9, 0xffffff1f, v9, 32
	v_readfirstlane_b32 s14, v7
	v_readfirstlane_b32 s15, v15
	v_dual_mov_b32 v19, s7 :: v_dual_mov_b32 v18, s6
	v_dual_mov_b32 v17, s5 :: v_dual_mov_b32 v16, s4
	s_clause 0x3
	global_store_b128 v32, v[9:12], s[14:15]
	global_store_b128 v32, v[16:19], s[14:15] offset:16
	global_store_b128 v32, v[16:19], s[14:15] offset:32
	;; [unrolled: 1-line block ×3, first 2 shown]
	s_and_saveexec_b32 s1, s0
	s_cbranch_execz .LBB14_180
; %bb.173:                              ;   in Loop: Header=BB14_4 Depth=1
	s_clause 0x1
	global_load_b64 v[18:19], v1, s[10:11] offset:32 glc
	global_load_b64 v[9:10], v1, s[10:11] offset:40
	v_dual_mov_b32 v16, s12 :: v_dual_mov_b32 v17, s13
	s_waitcnt vmcnt(0)
	v_readfirstlane_b32 s6, v9
	v_readfirstlane_b32 s7, v10
	s_delay_alu instid0(VALU_DEP_1) | instskip(NEXT) | instid1(SALU_CYCLE_1)
	s_and_b64 s[6:7], s[6:7], s[12:13]
	s_mul_i32 s5, s7, 24
	s_mul_hi_u32 s7, s6, 24
	s_mul_i32 s6, s6, 24
	s_add_i32 s7, s7, s5
	v_add_co_u32 v13, vcc_lo, v13, s6
	v_add_co_ci_u32_e32 v14, vcc_lo, s7, v14, vcc_lo
	s_mov_b32 s5, exec_lo
	global_store_b64 v[13:14], v[18:19], off
	s_waitcnt_vscnt null, 0x0
	global_atomic_cmpswap_b64 v[11:12], v1, v[16:19], s[10:11] offset:32 glc
	s_waitcnt vmcnt(0)
	v_cmpx_ne_u64_e64 v[11:12], v[18:19]
	s_cbranch_execz .LBB14_176
; %bb.174:                              ;   in Loop: Header=BB14_4 Depth=1
	s_mov_b32 s6, 0
.LBB14_175:                             ;   Parent Loop BB14_4 Depth=1
                                        ; =>  This Inner Loop Header: Depth=2
	v_dual_mov_b32 v9, s12 :: v_dual_mov_b32 v10, s13
	s_sleep 1
	global_store_b64 v[13:14], v[11:12], off
	s_waitcnt_vscnt null, 0x0
	global_atomic_cmpswap_b64 v[9:10], v1, v[9:12], s[10:11] offset:32 glc
	s_waitcnt vmcnt(0)
	v_cmp_eq_u64_e32 vcc_lo, v[9:10], v[11:12]
	v_dual_mov_b32 v12, v10 :: v_dual_mov_b32 v11, v9
	s_or_b32 s6, vcc_lo, s6
	s_delay_alu instid0(SALU_CYCLE_1)
	s_and_not1_b32 exec_lo, exec_lo, s6
	s_cbranch_execnz .LBB14_175
.LBB14_176:                             ;   in Loop: Header=BB14_4 Depth=1
	s_or_b32 exec_lo, exec_lo, s5
	global_load_b64 v[9:10], v1, s[10:11] offset:16
	s_mov_b32 s6, exec_lo
	s_mov_b32 s5, exec_lo
	v_mbcnt_lo_u32_b32 v0, s6, 0
	s_delay_alu instid0(VALU_DEP_1)
	v_cmpx_eq_u32_e32 0, v0
	s_cbranch_execz .LBB14_178
; %bb.177:                              ;   in Loop: Header=BB14_4 Depth=1
	s_bcnt1_i32_b32 s6, s6
	s_delay_alu instid0(SALU_CYCLE_1)
	v_mov_b32_e32 v0, s6
	s_waitcnt vmcnt(0)
	global_atomic_add_u64 v[9:10], v[0:1], off offset:8
.LBB14_178:                             ;   in Loop: Header=BB14_4 Depth=1
	s_or_b32 exec_lo, exec_lo, s5
	s_waitcnt vmcnt(0)
	global_load_b64 v[11:12], v[9:10], off offset:16
	s_waitcnt vmcnt(0)
	v_cmp_eq_u64_e32 vcc_lo, 0, v[11:12]
	s_cbranch_vccnz .LBB14_180
; %bb.179:                              ;   in Loop: Header=BB14_4 Depth=1
	global_load_b32 v0, v[9:10], off offset:24
	s_waitcnt vmcnt(0)
	v_and_b32_e32 v9, 0xffffff, v0
	s_waitcnt_vscnt null, 0x0
	global_store_b64 v[11:12], v[0:1], off
	v_readfirstlane_b32 m0, v9
	s_sendmsg sendmsg(MSG_INTERRUPT)
.LBB14_180:                             ;   in Loop: Header=BB14_4 Depth=1
	s_or_b32 exec_lo, exec_lo, s1
	v_add_co_u32 v9, vcc_lo, v7, v32
	v_add_co_ci_u32_e32 v10, vcc_lo, 0, v15, vcc_lo
	s_branch .LBB14_184
	.p2align	6
.LBB14_181:                             ;   in Loop: Header=BB14_184 Depth=2
	s_or_b32 exec_lo, exec_lo, s1
	s_delay_alu instid0(VALU_DEP_1) | instskip(NEXT) | instid1(VALU_DEP_1)
	v_readfirstlane_b32 s1, v0
	s_cmp_eq_u32 s1, 0
	s_cbranch_scc1 .LBB14_183
; %bb.182:                              ;   in Loop: Header=BB14_184 Depth=2
	s_sleep 1
	s_cbranch_execnz .LBB14_184
	s_branch .LBB14_186
	.p2align	6
.LBB14_183:                             ;   in Loop: Header=BB14_4 Depth=1
	s_branch .LBB14_186
.LBB14_184:                             ;   Parent Loop BB14_4 Depth=1
                                        ; =>  This Inner Loop Header: Depth=2
	v_mov_b32_e32 v0, 1
	s_and_saveexec_b32 s1, s0
	s_cbranch_execz .LBB14_181
; %bb.185:                              ;   in Loop: Header=BB14_184 Depth=2
	global_load_b32 v0, v[5:6], off offset:20 glc
	s_waitcnt vmcnt(0)
	buffer_gl1_inv
	buffer_gl0_inv
	v_and_b32_e32 v0, 1, v0
	s_branch .LBB14_181
.LBB14_186:                             ;   in Loop: Header=BB14_4 Depth=1
	global_load_b64 v[6:7], v[9:10], off
	s_and_saveexec_b32 s1, s0
	s_cbranch_execz .LBB14_190
; %bb.187:                              ;   in Loop: Header=BB14_4 Depth=1
	s_clause 0x2
	global_load_b64 v[11:12], v1, s[10:11] offset:40
	global_load_b64 v[15:16], v1, s[10:11] offset:24 glc
	global_load_b64 v[13:14], v1, s[10:11]
	s_waitcnt vmcnt(2)
	v_add_co_u32 v0, vcc_lo, v11, 1
	v_add_co_ci_u32_e32 v5, vcc_lo, 0, v12, vcc_lo
	s_delay_alu instid0(VALU_DEP_2) | instskip(NEXT) | instid1(VALU_DEP_2)
	v_add_co_u32 v9, vcc_lo, v0, s12
	v_add_co_ci_u32_e32 v10, vcc_lo, s13, v5, vcc_lo
	s_delay_alu instid0(VALU_DEP_1) | instskip(SKIP_1) | instid1(VALU_DEP_1)
	v_cmp_eq_u64_e32 vcc_lo, 0, v[9:10]
	v_dual_cndmask_b32 v10, v10, v5 :: v_dual_cndmask_b32 v9, v9, v0
	v_and_b32_e32 v0, v10, v12
	s_waitcnt vmcnt(1)
	s_delay_alu instid0(VALU_DEP_2) | instskip(NEXT) | instid1(VALU_DEP_2)
	v_dual_mov_b32 v12, v16 :: v_dual_and_b32 v5, v9, v11
	v_mul_lo_u32 v0, v0, 24
	s_delay_alu instid0(VALU_DEP_2) | instskip(SKIP_1) | instid1(VALU_DEP_2)
	v_mul_hi_u32 v11, v5, 24
	v_mul_lo_u32 v5, v5, 24
	v_add_nc_u32_e32 v0, v11, v0
	s_waitcnt vmcnt(0)
	s_delay_alu instid0(VALU_DEP_2) | instskip(SKIP_1) | instid1(VALU_DEP_3)
	v_add_co_u32 v13, vcc_lo, v13, v5
	v_mov_b32_e32 v11, v15
	v_add_co_ci_u32_e32 v14, vcc_lo, v14, v0, vcc_lo
	global_store_b64 v[13:14], v[15:16], off
	s_waitcnt_vscnt null, 0x0
	global_atomic_cmpswap_b64 v[11:12], v1, v[9:12], s[10:11] offset:24 glc
	s_waitcnt vmcnt(0)
	v_cmp_ne_u64_e32 vcc_lo, v[11:12], v[15:16]
	s_and_b32 exec_lo, exec_lo, vcc_lo
	s_cbranch_execz .LBB14_190
; %bb.188:                              ;   in Loop: Header=BB14_4 Depth=1
	s_mov_b32 s0, 0
.LBB14_189:                             ;   Parent Loop BB14_4 Depth=1
                                        ; =>  This Inner Loop Header: Depth=2
	s_sleep 1
	global_store_b64 v[13:14], v[11:12], off
	s_waitcnt_vscnt null, 0x0
	global_atomic_cmpswap_b64 v[15:16], v1, v[9:12], s[10:11] offset:24 glc
	s_waitcnt vmcnt(0)
	v_cmp_eq_u64_e32 vcc_lo, v[15:16], v[11:12]
	v_dual_mov_b32 v11, v15 :: v_dual_mov_b32 v12, v16
	s_or_b32 s0, vcc_lo, s0
	s_delay_alu instid0(SALU_CYCLE_1)
	s_and_not1_b32 exec_lo, exec_lo, s0
	s_cbranch_execnz .LBB14_189
.LBB14_190:                             ;   in Loop: Header=BB14_4 Depth=1
	s_or_b32 exec_lo, exec_lo, s1
	v_readfirstlane_b32 s0, v31
	v_mov_b32_e32 v14, 0
	v_mov_b32_e32 v15, 0
	s_delay_alu instid0(VALU_DEP_3) | instskip(NEXT) | instid1(VALU_DEP_1)
	v_cmp_eq_u32_e64 s0, s0, v31
	s_and_saveexec_b32 s1, s0
	s_cbranch_execz .LBB14_196
; %bb.191:                              ;   in Loop: Header=BB14_4 Depth=1
	global_load_b64 v[11:12], v1, s[10:11] offset:24 glc
	s_waitcnt vmcnt(0)
	buffer_gl1_inv
	buffer_gl0_inv
	s_clause 0x1
	global_load_b64 v[9:10], v1, s[10:11] offset:40
	global_load_b64 v[13:14], v1, s[10:11]
	s_mov_b32 s5, exec_lo
	s_waitcnt vmcnt(1)
	v_and_b32_e32 v0, v10, v12
	v_and_b32_e32 v5, v9, v11
	s_delay_alu instid0(VALU_DEP_2) | instskip(NEXT) | instid1(VALU_DEP_2)
	v_mul_lo_u32 v0, v0, 24
	v_mul_hi_u32 v9, v5, 24
	v_mul_lo_u32 v5, v5, 24
	s_delay_alu instid0(VALU_DEP_2) | instskip(SKIP_1) | instid1(VALU_DEP_2)
	v_add_nc_u32_e32 v0, v9, v0
	s_waitcnt vmcnt(0)
	v_add_co_u32 v9, vcc_lo, v13, v5
	s_delay_alu instid0(VALU_DEP_2)
	v_add_co_ci_u32_e32 v10, vcc_lo, v14, v0, vcc_lo
	global_load_b64 v[9:10], v[9:10], off glc
	s_waitcnt vmcnt(0)
	global_atomic_cmpswap_b64 v[14:15], v1, v[9:12], s[10:11] offset:24 glc
	s_waitcnt vmcnt(0)
	buffer_gl1_inv
	buffer_gl0_inv
	v_cmpx_ne_u64_e64 v[14:15], v[11:12]
	s_cbranch_execz .LBB14_195
; %bb.192:                              ;   in Loop: Header=BB14_4 Depth=1
	s_mov_b32 s6, 0
	.p2align	6
.LBB14_193:                             ;   Parent Loop BB14_4 Depth=1
                                        ; =>  This Inner Loop Header: Depth=2
	s_sleep 1
	s_clause 0x1
	global_load_b64 v[9:10], v1, s[10:11] offset:40
	global_load_b64 v[16:17], v1, s[10:11]
	v_dual_mov_b32 v11, v14 :: v_dual_mov_b32 v12, v15
	s_waitcnt vmcnt(1)
	s_delay_alu instid0(VALU_DEP_1) | instskip(NEXT) | instid1(VALU_DEP_2)
	v_and_b32_e32 v0, v9, v11
	v_and_b32_e32 v5, v10, v12
	s_waitcnt vmcnt(0)
	s_delay_alu instid0(VALU_DEP_2) | instskip(NEXT) | instid1(VALU_DEP_1)
	v_mad_u64_u32 v[13:14], null, v0, 24, v[16:17]
	v_mov_b32_e32 v0, v14
	s_delay_alu instid0(VALU_DEP_1) | instskip(NEXT) | instid1(VALU_DEP_1)
	v_mad_u64_u32 v[9:10], null, v5, 24, v[0:1]
	v_mov_b32_e32 v14, v9
	global_load_b64 v[9:10], v[13:14], off glc
	s_waitcnt vmcnt(0)
	global_atomic_cmpswap_b64 v[14:15], v1, v[9:12], s[10:11] offset:24 glc
	s_waitcnt vmcnt(0)
	buffer_gl1_inv
	buffer_gl0_inv
	v_cmp_eq_u64_e32 vcc_lo, v[14:15], v[11:12]
	s_or_b32 s6, vcc_lo, s6
	s_delay_alu instid0(SALU_CYCLE_1)
	s_and_not1_b32 exec_lo, exec_lo, s6
	s_cbranch_execnz .LBB14_193
; %bb.194:                              ;   in Loop: Header=BB14_4 Depth=1
	s_or_b32 exec_lo, exec_lo, s6
.LBB14_195:                             ;   in Loop: Header=BB14_4 Depth=1
	s_delay_alu instid0(SALU_CYCLE_1)
	s_or_b32 exec_lo, exec_lo, s5
.LBB14_196:                             ;   in Loop: Header=BB14_4 Depth=1
	s_delay_alu instid0(SALU_CYCLE_1)
	s_or_b32 exec_lo, exec_lo, s1
	s_clause 0x1
	global_load_b64 v[16:17], v1, s[10:11] offset:40
	global_load_b128 v[10:13], v1, s[10:11]
	v_readfirstlane_b32 s12, v14
	v_readfirstlane_b32 s13, v15
	s_mov_b32 s1, exec_lo
	s_waitcnt vmcnt(1)
	v_readfirstlane_b32 s6, v16
	v_readfirstlane_b32 s7, v17
	s_delay_alu instid0(VALU_DEP_1) | instskip(NEXT) | instid1(SALU_CYCLE_1)
	s_and_b64 s[6:7], s[12:13], s[6:7]
	s_mul_i32 s5, s7, 24
	s_mul_hi_u32 s14, s6, 24
	s_mul_i32 s15, s6, 24
	s_add_i32 s14, s14, s5
	s_waitcnt vmcnt(0)
	v_add_co_u32 v14, vcc_lo, v10, s15
	v_add_co_ci_u32_e32 v15, vcc_lo, s14, v11, vcc_lo
	s_and_saveexec_b32 s5, s0
	s_cbranch_execz .LBB14_198
; %bb.197:                              ;   in Loop: Header=BB14_4 Depth=1
	v_mov_b32_e32 v0, s1
	global_store_b128 v[14:15], v[0:3], off offset:8
.LBB14_198:                             ;   in Loop: Header=BB14_4 Depth=1
	s_or_b32 exec_lo, exec_lo, s5
	s_lshl_b64 s[6:7], s[6:7], 12
	s_mov_b32 s5, s4
	v_add_co_u32 v0, vcc_lo, v12, s6
	v_add_co_ci_u32_e32 v5, vcc_lo, s7, v13, vcc_lo
	s_mov_b32 s7, s4
	s_mov_b32 s6, s4
	v_and_or_b32 v6, 0xffffff1d, v6, 34
	v_mov_b32_e32 v9, v1
	v_readfirstlane_b32 s14, v0
	v_readfirstlane_b32 s15, v5
	v_dual_mov_b32 v19, s7 :: v_dual_mov_b32 v16, s4
	v_dual_mov_b32 v18, s6 :: v_dual_mov_b32 v17, s5
	s_clause 0x3
	global_store_b128 v32, v[6:9], s[14:15]
	global_store_b128 v32, v[16:19], s[14:15] offset:16
	global_store_b128 v32, v[16:19], s[14:15] offset:32
	;; [unrolled: 1-line block ×3, first 2 shown]
	s_and_saveexec_b32 s1, s0
	s_cbranch_execz .LBB14_206
; %bb.199:                              ;   in Loop: Header=BB14_4 Depth=1
	s_clause 0x1
	global_load_b64 v[18:19], v1, s[10:11] offset:32 glc
	global_load_b64 v[5:6], v1, s[10:11] offset:40
	v_dual_mov_b32 v16, s12 :: v_dual_mov_b32 v17, s13
	s_waitcnt vmcnt(0)
	v_readfirstlane_b32 s6, v5
	v_readfirstlane_b32 s7, v6
	s_delay_alu instid0(VALU_DEP_1) | instskip(NEXT) | instid1(SALU_CYCLE_1)
	s_and_b64 s[6:7], s[6:7], s[12:13]
	s_mul_i32 s5, s7, 24
	s_mul_hi_u32 s7, s6, 24
	s_mul_i32 s6, s6, 24
	s_add_i32 s7, s7, s5
	v_add_co_u32 v9, vcc_lo, v10, s6
	v_add_co_ci_u32_e32 v10, vcc_lo, s7, v11, vcc_lo
	s_mov_b32 s5, exec_lo
	global_store_b64 v[9:10], v[18:19], off
	s_waitcnt_vscnt null, 0x0
	global_atomic_cmpswap_b64 v[7:8], v1, v[16:19], s[10:11] offset:32 glc
	s_waitcnt vmcnt(0)
	v_cmpx_ne_u64_e64 v[7:8], v[18:19]
	s_cbranch_execz .LBB14_202
; %bb.200:                              ;   in Loop: Header=BB14_4 Depth=1
	s_mov_b32 s6, 0
.LBB14_201:                             ;   Parent Loop BB14_4 Depth=1
                                        ; =>  This Inner Loop Header: Depth=2
	v_dual_mov_b32 v5, s12 :: v_dual_mov_b32 v6, s13
	s_sleep 1
	global_store_b64 v[9:10], v[7:8], off
	s_waitcnt_vscnt null, 0x0
	global_atomic_cmpswap_b64 v[5:6], v1, v[5:8], s[10:11] offset:32 glc
	s_waitcnt vmcnt(0)
	v_cmp_eq_u64_e32 vcc_lo, v[5:6], v[7:8]
	v_dual_mov_b32 v8, v6 :: v_dual_mov_b32 v7, v5
	s_or_b32 s6, vcc_lo, s6
	s_delay_alu instid0(SALU_CYCLE_1)
	s_and_not1_b32 exec_lo, exec_lo, s6
	s_cbranch_execnz .LBB14_201
.LBB14_202:                             ;   in Loop: Header=BB14_4 Depth=1
	s_or_b32 exec_lo, exec_lo, s5
	global_load_b64 v[5:6], v1, s[10:11] offset:16
	s_mov_b32 s6, exec_lo
	s_mov_b32 s5, exec_lo
	v_mbcnt_lo_u32_b32 v0, s6, 0
	s_delay_alu instid0(VALU_DEP_1)
	v_cmpx_eq_u32_e32 0, v0
	s_cbranch_execz .LBB14_204
; %bb.203:                              ;   in Loop: Header=BB14_4 Depth=1
	s_bcnt1_i32_b32 s6, s6
	s_delay_alu instid0(SALU_CYCLE_1)
	v_mov_b32_e32 v0, s6
	s_waitcnt vmcnt(0)
	global_atomic_add_u64 v[5:6], v[0:1], off offset:8
.LBB14_204:                             ;   in Loop: Header=BB14_4 Depth=1
	s_or_b32 exec_lo, exec_lo, s5
	s_waitcnt vmcnt(0)
	global_load_b64 v[7:8], v[5:6], off offset:16
	s_waitcnt vmcnt(0)
	v_cmp_eq_u64_e32 vcc_lo, 0, v[7:8]
	s_cbranch_vccnz .LBB14_206
; %bb.205:                              ;   in Loop: Header=BB14_4 Depth=1
	global_load_b32 v0, v[5:6], off offset:24
	s_waitcnt vmcnt(0)
	v_and_b32_e32 v5, 0xffffff, v0
	s_waitcnt_vscnt null, 0x0
	global_store_b64 v[7:8], v[0:1], off
	v_readfirstlane_b32 m0, v5
	s_sendmsg sendmsg(MSG_INTERRUPT)
.LBB14_206:                             ;   in Loop: Header=BB14_4 Depth=1
	s_or_b32 exec_lo, exec_lo, s1
	s_branch .LBB14_210
	.p2align	6
.LBB14_207:                             ;   in Loop: Header=BB14_210 Depth=2
	s_or_b32 exec_lo, exec_lo, s1
	s_delay_alu instid0(VALU_DEP_1) | instskip(NEXT) | instid1(VALU_DEP_1)
	v_readfirstlane_b32 s1, v0
	s_cmp_eq_u32 s1, 0
	s_cbranch_scc1 .LBB14_209
; %bb.208:                              ;   in Loop: Header=BB14_210 Depth=2
	s_sleep 1
	s_cbranch_execnz .LBB14_210
	s_branch .LBB14_212
	.p2align	6
.LBB14_209:                             ;   in Loop: Header=BB14_4 Depth=1
	s_branch .LBB14_212
.LBB14_210:                             ;   Parent Loop BB14_4 Depth=1
                                        ; =>  This Inner Loop Header: Depth=2
	v_mov_b32_e32 v0, 1
	s_and_saveexec_b32 s1, s0
	s_cbranch_execz .LBB14_207
; %bb.211:                              ;   in Loop: Header=BB14_210 Depth=2
	global_load_b32 v0, v[14:15], off offset:20 glc
	s_waitcnt vmcnt(0)
	buffer_gl1_inv
	buffer_gl0_inv
	v_and_b32_e32 v0, 1, v0
	s_branch .LBB14_207
.LBB14_212:                             ;   in Loop: Header=BB14_4 Depth=1
	s_and_saveexec_b32 s1, s0
	s_cbranch_execz .LBB14_2
; %bb.213:                              ;   in Loop: Header=BB14_4 Depth=1
	s_clause 0x2
	global_load_b64 v[7:8], v1, s[10:11] offset:40
	global_load_b64 v[11:12], v1, s[10:11] offset:24 glc
	global_load_b64 v[9:10], v1, s[10:11]
	s_waitcnt vmcnt(2)
	v_add_co_u32 v0, vcc_lo, v7, 1
	v_add_co_ci_u32_e32 v13, vcc_lo, 0, v8, vcc_lo
	s_delay_alu instid0(VALU_DEP_2) | instskip(NEXT) | instid1(VALU_DEP_2)
	v_add_co_u32 v5, vcc_lo, v0, s12
	v_add_co_ci_u32_e32 v6, vcc_lo, s13, v13, vcc_lo
	s_delay_alu instid0(VALU_DEP_1) | instskip(SKIP_1) | instid1(VALU_DEP_1)
	v_cmp_eq_u64_e32 vcc_lo, 0, v[5:6]
	v_dual_cndmask_b32 v6, v6, v13 :: v_dual_cndmask_b32 v5, v5, v0
	v_and_b32_e32 v0, v6, v8
	s_delay_alu instid0(VALU_DEP_2) | instskip(NEXT) | instid1(VALU_DEP_1)
	v_and_b32_e32 v7, v5, v7
	v_mul_hi_u32 v8, v7, 24
	v_mul_lo_u32 v7, v7, 24
	s_waitcnt vmcnt(0)
	s_delay_alu instid0(VALU_DEP_1) | instskip(SKIP_2) | instid1(VALU_DEP_1)
	v_add_co_u32 v9, vcc_lo, v9, v7
	v_mov_b32_e32 v7, v11
	v_mul_lo_u32 v0, v0, 24
	v_add_nc_u32_e32 v0, v8, v0
	v_mov_b32_e32 v8, v12
	s_delay_alu instid0(VALU_DEP_2)
	v_add_co_ci_u32_e32 v10, vcc_lo, v10, v0, vcc_lo
	global_store_b64 v[9:10], v[11:12], off
	s_waitcnt_vscnt null, 0x0
	global_atomic_cmpswap_b64 v[7:8], v1, v[5:8], s[10:11] offset:24 glc
	s_waitcnt vmcnt(0)
	v_cmp_ne_u64_e32 vcc_lo, v[7:8], v[11:12]
	s_and_b32 exec_lo, exec_lo, vcc_lo
	s_cbranch_execz .LBB14_2
; %bb.214:                              ;   in Loop: Header=BB14_4 Depth=1
	s_mov_b32 s0, 0
.LBB14_215:                             ;   Parent Loop BB14_4 Depth=1
                                        ; =>  This Inner Loop Header: Depth=2
	s_sleep 1
	global_store_b64 v[9:10], v[7:8], off
	s_waitcnt_vscnt null, 0x0
	global_atomic_cmpswap_b64 v[11:12], v1, v[5:8], s[10:11] offset:24 glc
	s_waitcnt vmcnt(0)
	v_cmp_eq_u64_e32 vcc_lo, v[11:12], v[7:8]
	v_dual_mov_b32 v7, v11 :: v_dual_mov_b32 v8, v12
	s_or_b32 s0, vcc_lo, s0
	s_delay_alu instid0(SALU_CYCLE_1)
	s_and_not1_b32 exec_lo, exec_lo, s0
	s_cbranch_execnz .LBB14_215
	s_branch .LBB14_2
.LBB14_216:
	s_nop 0
	s_sendmsg sendmsg(MSG_DEALLOC_VGPRS)
	s_endpgm
	.section	.rodata,"a",@progbits
	.p2align	6, 0x0
	.amdhsa_kernel _Z5printiPN2rw3CutEPi
		.amdhsa_group_segment_fixed_size 0
		.amdhsa_private_segment_fixed_size 0
		.amdhsa_kernarg_size 280
		.amdhsa_user_sgpr_count 15
		.amdhsa_user_sgpr_dispatch_ptr 0
		.amdhsa_user_sgpr_queue_ptr 0
		.amdhsa_user_sgpr_kernarg_segment_ptr 1
		.amdhsa_user_sgpr_dispatch_id 0
		.amdhsa_user_sgpr_private_segment_size 0
		.amdhsa_wavefront_size32 1
		.amdhsa_uses_dynamic_stack 0
		.amdhsa_enable_private_segment 0
		.amdhsa_system_sgpr_workgroup_id_x 1
		.amdhsa_system_sgpr_workgroup_id_y 0
		.amdhsa_system_sgpr_workgroup_id_z 0
		.amdhsa_system_sgpr_workgroup_info 0
		.amdhsa_system_vgpr_workitem_id 0
		.amdhsa_next_free_vgpr 36
		.amdhsa_next_free_sgpr 26
		.amdhsa_reserve_vcc 1
		.amdhsa_float_round_mode_32 0
		.amdhsa_float_round_mode_16_64 0
		.amdhsa_float_denorm_mode_32 3
		.amdhsa_float_denorm_mode_16_64 3
		.amdhsa_dx10_clamp 1
		.amdhsa_ieee_mode 1
		.amdhsa_fp16_overflow 0
		.amdhsa_workgroup_processor_mode 1
		.amdhsa_memory_ordered 1
		.amdhsa_forward_progress 0
		.amdhsa_shared_vgpr_count 0
		.amdhsa_exception_fp_ieee_invalid_op 0
		.amdhsa_exception_fp_denorm_src 0
		.amdhsa_exception_fp_ieee_div_zero 0
		.amdhsa_exception_fp_ieee_overflow 0
		.amdhsa_exception_fp_ieee_underflow 0
		.amdhsa_exception_fp_ieee_inexact 0
		.amdhsa_exception_int_div_zero 0
	.end_amdhsa_kernel
	.text
.Lfunc_end14:
	.size	_Z5printiPN2rw3CutEPi, .Lfunc_end14-_Z5printiPN2rw3CutEPi
                                        ; -- End function
	.section	.AMDGPU.csdata,"",@progbits
; Kernel info:
; codeLenInByte = 8984
; NumSgprs: 28
; NumVgprs: 36
; ScratchSize: 0
; MemoryBound: 0
; FloatMode: 240
; IeeeMode: 1
; LDSByteSize: 0 bytes/workgroup (compile time only)
; SGPRBlocks: 3
; VGPRBlocks: 4
; NumSGPRsForWavesPerEU: 28
; NumVGPRsForWavesPerEU: 36
; Occupancy: 16
; WaveLimiterHint : 1
; COMPUTE_PGM_RSRC2:SCRATCH_EN: 0
; COMPUTE_PGM_RSRC2:USER_SGPR: 15
; COMPUTE_PGM_RSRC2:TRAP_HANDLER: 0
; COMPUTE_PGM_RSRC2:TGID_X_EN: 1
; COMPUTE_PGM_RSRC2:TGID_Y_EN: 0
; COMPUTE_PGM_RSRC2:TGID_Z_EN: 0
; COMPUTE_PGM_RSRC2:TIDIG_COMP_CNT: 0
	.text
	.protected	_Z16EvaluateNodeWaveiPiS_S_S_S_S_PN2rw3CutES2_S_PNS0_7LibraryEPNS0_9TableNodeEPKii ; -- Begin function _Z16EvaluateNodeWaveiPiS_S_S_S_S_PN2rw3CutES2_S_PNS0_7LibraryEPNS0_9TableNodeEPKii
	.globl	_Z16EvaluateNodeWaveiPiS_S_S_S_S_PN2rw3CutES2_S_PNS0_7LibraryEPNS0_9TableNodeEPKii
	.p2align	8
	.type	_Z16EvaluateNodeWaveiPiS_S_S_S_S_PN2rw3CutES2_S_PNS0_7LibraryEPNS0_9TableNodeEPKii,@function
_Z16EvaluateNodeWaveiPiS_S_S_S_S_PN2rw3CutES2_S_PNS0_7LibraryEPNS0_9TableNodeEPKii: ; @_Z16EvaluateNodeWaveiPiS_S_S_S_S_PN2rw3CutES2_S_PNS0_7LibraryEPNS0_9TableNodeEPKii
; %bb.0:
	s_mov_b64 s[36:37], s[2:3]
	s_load_b32 s2, s[2:3], 0x7c
	s_load_b32 s3, s[36:37], 0x0
	v_and_b32_e32 v1, 0x3ff, v0
	s_movk_i32 s32, 0x1e0
	s_waitcnt lgkmcnt(0)
	s_and_b32 s2, s2, 0xffff
	s_delay_alu instid0(VALU_DEP_1) | instid1(SALU_CYCLE_1)
	v_mad_u64_u32 v[62:63], null, s15, s2, v[1:2]
	s_mov_b32 s2, exec_lo
	s_delay_alu instid0(VALU_DEP_1)
	v_cmpx_gt_u32_e64 s3, v62
	s_cbranch_execz .LBB15_78
; %bb.1:
	s_load_b256 s[56:63], s[36:37], 0x48
	v_ashrrev_i32_e32 v63, 31, v62
	s_load_b512 s[40:55], s[36:37], 0x8
	s_mov_b32 s73, 0
	s_mov_b32 s2, exec_lo
	s_delay_alu instid0(VALU_DEP_1) | instskip(SKIP_1) | instid1(VALU_DEP_1)
	v_lshlrev_b64 v[72:73], 2, v[62:63]
	s_waitcnt lgkmcnt(0)
	v_add_co_u32 v2, vcc_lo, s62, v72
	s_delay_alu instid0(VALU_DEP_2)
	v_add_co_ci_u32_e32 v3, vcc_lo, s63, v73, vcc_lo
	global_load_b32 v2, v[2:3], off offset:4
	s_waitcnt vmcnt(0)
	v_cmpx_ne_u32_e32 0, v2
	s_xor_b32 s23, exec_lo, s2
	s_cbranch_execz .LBB15_76
; %bb.2:
	s_load_b64 s[0:1], s[0:1], 0x4
	s_load_b32 s74, s[36:37], 0x68
	v_bfe_u32 v2, v0, 10, 10
	v_bfe_u32 v0, v0, 20, 10
                                        ; implicit-def: $vgpr90 : SGPR spill to VGPR lane
	s_mov_b64 s[2:3], src_shared_base
	v_writelane_b32 v90, s23, 0
	v_dual_mov_b32 v45, s3 :: v_dual_add_nc_u32 v44, 1, v62
	v_add_nc_u32_e64 v60, 0x100, 16
	v_mov_b32_e32 v46, s3
	v_add_nc_u32_e64 v77, 0, 16
	s_delay_alu instid0(VALU_DEP_4)
	v_dual_mov_b32 v63, -1 :: v_dual_lshlrev_b32 v58, 3, v44
	v_mov_b32_e32 v78, -1
	v_mov_b32_e32 v88, 0x5f5e0ff
	v_mov_b32_e32 v74, 0
	s_mov_b64 s[38:39], src_private_base
	s_mov_b32 s38, 0
	s_movk_i32 s72, 0xe0
	s_mov_b32 s76, s39
	s_waitcnt lgkmcnt(0)
	s_lshr_b32 s0, s0, 16
	s_add_u32 s62, s58, 0x80180
	s_addc_u32 s63, s59, 0
	s_add_u32 s77, s58, 0x80000
	s_addc_u32 s78, s59, 0
	s_add_u32 s68, s58, 0x40000
	s_mul_i32 s0, s0, s1
	s_addc_u32 s69, s59, 0
	s_add_u32 s79, s58, 0xc0180
	v_mul_lo_u32 v1, s0, v1
	s_addc_u32 s80, s59, 0
	s_add_u32 s81, s58, 0xc4dd0
	s_addc_u32 s82, s59, 0
	v_mul_u32_u24_e32 v2, s1, v2
	s_add_u32 s83, s58, 0xd1df0
	s_addc_u32 s84, s59, 0
	s_add_u32 s85, s58, 0xdee10
	s_addc_u32 s86, s59, 0
	s_add_u32 s87, s58, 0xebe30
	v_add3_u32 v0, v1, v2, v0
	s_addc_u32 s88, s59, 0
	s_add_u32 s90, s58, 0xc04f8
	s_addc_u32 s70, s59, 0
	s_add_u32 s0, s58, 0xc0870
	s_addc_u32 s1, s59, 0
	v_lshl_add_u32 v47, v0, 2, 0x8000
	v_lshlrev_b32_e32 v56, 5, v0
	v_writelane_b32 v90, s0, 1
	s_mov_b32 s64, -1
	s_mov_b32 s71, 0x87ffffff
	s_mov_b32 s92, 0
                                        ; implicit-def: $sgpr93
                                        ; implicit-def: $sgpr94
                                        ; implicit-def: $sgpr95
                                        ; implicit-def: $sgpr96
                                        ; implicit-def: $vgpr59
	v_writelane_b32 v90, s1, 2
	s_branch .LBB15_4
.LBB15_3:                               ;   in Loop: Header=BB15_4 Depth=1
	s_or_b32 exec_lo, exec_lo, s2
	s_delay_alu instid0(SALU_CYCLE_1) | instskip(NEXT) | instid1(SALU_CYCLE_1)
	s_and_b32 s0, exec_lo, s1
	s_or_b32 s73, s0, s73
	s_and_not1_b32 s0, s94, exec_lo
	s_and_b32 s1, s96, exec_lo
	s_and_not1_b32 s2, s93, exec_lo
	s_and_b32 s3, s95, exec_lo
	s_or_b32 s94, s0, s1
	s_or_b32 s93, s2, s3
	s_and_not1_b32 exec_lo, exec_lo, s73
	s_cbranch_execz .LBB15_71
.LBB15_4:                               ; =>This Loop Header: Depth=1
                                        ;     Child Loop BB15_13 Depth 2
                                        ;       Child Loop BB15_26 Depth 3
                                        ;       Child Loop BB15_41 Depth 3
                                        ;     Child Loop BB15_53 Depth 2
	v_or_b32_e32 v0, s92, v58
	s_mov_b32 s0, -1
	s_mov_b32 s97, exec_lo
                                        ; implicit-def: $sgpr2
                                        ; implicit-def: $sgpr3
	s_delay_alu instid0(VALU_DEP_1)
	v_mad_i64_i32 v[40:41], null, v0, 28, s[52:53]
	global_load_u8 v0, v[40:41], off offset:24
	s_waitcnt vmcnt(0)
	v_cmpx_ne_u16_e32 0, v0
	s_cbranch_execz .LBB15_69
; %bb.5:                                ;   in Loop: Header=BB15_4 Depth=1
	global_load_b32 v75, v[40:41], off offset:20
	s_mov_b32 s99, exec_lo
                                        ; implicit-def: $sgpr0
                                        ; implicit-def: $sgpr1
	s_waitcnt vmcnt(0)
	v_bfe_u32 v89, v75, 27, 4
	s_delay_alu instid0(VALU_DEP_1)
	v_cmp_gt_u32_e64 s98, 3, v89
	v_cmpx_lt_u32_e32 2, v89
	s_cbranch_execz .LBB15_68
; %bb.6:                                ;   in Loop: Header=BB15_4 Depth=1
	s_mov_b32 s0, exec_lo
	v_cmpx_eq_u32_e32 3, v89
	s_cbranch_execz .LBB15_8
; %bb.7:                                ;   in Loop: Header=BB15_4 Depth=1
	v_and_or_b32 v75, v75, s71, 0x20000000
	global_store_b64 v[40:41], v[74:75], off offset:16
.LBB15_8:                               ;   in Loop: Header=BB15_4 Depth=1
	s_or_b32 exec_lo, exec_lo, s0
	v_dual_mov_b32 v0, v44 :: v_dual_mov_b32 v3, s42
	v_dual_mov_b32 v1, v40 :: v_dual_mov_b32 v2, v41
	;; [unrolled: 1-line block ×7, first 2 shown]
	v_mov_b32_e32 v14, s57
	ds_store_b32 v47, v74
	s_getpc_b64 s[0:1]
	s_add_u32 s0, s0, _Z8CalcMFFCiPN2rw3CutEPiS2_S2_S2_S2_S2_i@rel32@lo+4
	s_addc_u32 s1, s1, _Z8CalcMFFCiPN2rw3CutEPiS2_S2_S2_S2_S2_i@rel32@hi+12
	s_delay_alu instid0(SALU_CYCLE_1)
	s_swappc_b64 s[30:31], s[0:1]
	v_dual_mov_b32 v57, v0 :: v_dual_and_b32 v0, 0xffff, v75
	s_mov_b32 s65, s64
	s_mov_b32 s66, s64
	;; [unrolled: 1-line block ×3, first 2 shown]
	v_mov_b32_e32 v18, s64
	v_lshlrev_b32_e32 v2, 2, v0
	s_mov_b32 s1, -1
	s_mov_b32 s3, exec_lo
	s_clause 0x1
	global_load_b32 v0, v2, s[68:69]
	global_load_b32 v42, v2, s[62:63]
	v_mov_b32_e32 v19, s65
	s_waitcnt vmcnt(1)
	v_ashrrev_i32_e32 v1, 31, v0
	s_waitcnt vmcnt(0)
	v_ashrrev_i32_e32 v43, 31, v42
	s_delay_alu instid0(VALU_DEP_2) | instskip(NEXT) | instid1(VALU_DEP_1)
	v_lshlrev_b64 v[0:1], 4, v[0:1]
	v_add_co_u32 v0, vcc_lo, s77, v0
	s_delay_alu instid0(VALU_DEP_2) | instskip(SKIP_2) | instid1(VALU_DEP_1)
	v_add_co_ci_u32_e32 v1, vcc_lo, s78, v1, vcc_lo
	global_load_b128 v[3:6], v[0:1], off
	v_lshlrev_b64 v[0:1], 2, v[42:43]
	v_add_co_u32 v7, vcc_lo, s79, v0
	s_delay_alu instid0(VALU_DEP_2)
	v_add_co_ci_u32_e32 v8, vcc_lo, s80, v1, vcc_lo
	global_load_b32 v13, v[7:8], off
	s_waitcnt vmcnt(1)
	v_mov_b32_e32 v7, v3
	v_ashrrev_i32_e32 v8, 31, v3
	v_ashrrev_i32_e32 v9, 31, v4
	s_delay_alu instid0(VALU_DEP_2) | instskip(NEXT) | instid1(VALU_DEP_1)
	v_lshlrev_b64 v[7:8], 2, v[7:8]
	v_add_co_u32 v7, vcc_lo, v40, v7
	s_delay_alu instid0(VALU_DEP_2) | instskip(SKIP_3) | instid1(VALU_DEP_2)
	v_add_co_ci_u32_e32 v8, vcc_lo, v41, v8, vcc_lo
	global_load_b32 v3, v[7:8], off offset:4
	v_ashrrev_i32_e32 v7, 31, v6
	v_mov_b32_e32 v8, v4
	v_lshlrev_b64 v[6:7], 2, v[6:7]
	s_delay_alu instid0(VALU_DEP_2) | instskip(NEXT) | instid1(VALU_DEP_2)
	v_lshlrev_b64 v[8:9], 2, v[8:9]
	v_add_co_u32 v6, vcc_lo, v40, v6
	s_delay_alu instid0(VALU_DEP_3)
	v_add_co_ci_u32_e32 v7, vcc_lo, v41, v7, vcc_lo
	global_load_b32 v11, v[6:7], off offset:4
	v_add_co_u32 v6, vcc_lo, v40, v8
	v_add_co_ci_u32_e32 v7, vcc_lo, v41, v9, vcc_lo
	s_waitcnt vmcnt(1)
	v_ashrrev_i32_e32 v4, 31, v3
	s_delay_alu instid0(VALU_DEP_1) | instskip(SKIP_2) | instid1(VALU_DEP_1)
	v_lshlrev_b64 v[8:9], 2, v[3:4]
	global_load_b32 v4, v[6:7], off offset:4
	v_ashrrev_i32_e32 v6, 31, v5
	v_lshlrev_b64 v[6:7], 2, v[5:6]
	s_delay_alu instid0(VALU_DEP_1) | instskip(NEXT) | instid1(VALU_DEP_2)
	v_add_co_u32 v6, vcc_lo, v40, v6
	v_add_co_ci_u32_e32 v7, vcc_lo, v41, v7, vcc_lo
	s_waitcnt vmcnt(1)
	v_ashrrev_i32_e32 v12, 31, v11
	s_delay_alu instid0(VALU_DEP_1) | instskip(SKIP_2) | instid1(VALU_DEP_1)
	v_lshlrev_b64 v[16:17], 2, v[11:12]
	s_waitcnt vmcnt(0)
	v_ashrrev_i32_e32 v5, 31, v4
	v_lshlrev_b64 v[14:15], 2, v[4:5]
	global_load_b32 v5, v[6:7], off offset:4
	v_add_co_u32 v7, vcc_lo, s50, v8
	v_add_co_ci_u32_e32 v8, vcc_lo, s51, v9, vcc_lo
	v_add_co_u32 v14, vcc_lo, s50, v14
	v_add_co_ci_u32_e32 v15, vcc_lo, s51, v15, vcc_lo
	s_waitcnt vmcnt(0)
	v_ashrrev_i32_e32 v6, 31, v5
	s_delay_alu instid0(VALU_DEP_1) | instskip(SKIP_1) | instid1(VALU_DEP_2)
	v_lshlrev_b64 v[9:10], 2, v[5:6]
	v_mov_b32_e32 v6, v11
	v_add_co_u32 v9, vcc_lo, s50, v9
	s_delay_alu instid0(VALU_DEP_3)
	v_add_co_ci_u32_e32 v10, vcc_lo, s51, v10, vcc_lo
	v_add_co_u32 v16, vcc_lo, s50, v16
	v_add_co_ci_u32_e32 v17, vcc_lo, s51, v17, vcc_lo
	s_clause 0x3
	global_load_b32 v7, v[7:8], off
	global_load_b32 v8, v[14:15], off
	;; [unrolled: 1-line block ×4, first 2 shown]
	v_dual_mov_b32 v14, s64 :: v_dual_mov_b32 v17, s67
	v_dual_mov_b32 v15, s65 :: v_dual_mov_b32 v16, s66
	s_clause 0x1c
	scratch_store_b128 off, v[14:17], off offset:256
	scratch_store_b128 off, v[14:17], off offset:272
	scratch_store_b128 off, v[14:17], off
	scratch_store_b128 off, v[14:17], off offset:16
	scratch_store_b128 off, v[14:17], off offset:304
	scratch_store_b128 off, v[14:17], off offset:320
	scratch_store_b128 off, v[14:17], off offset:48
	scratch_store_b128 off, v[14:17], off offset:64
	scratch_store_b128 off, v[14:17], off offset:336
	scratch_store_b128 off, v[14:17], off offset:352
	scratch_store_b128 off, v[14:17], off offset:80
	scratch_store_b128 off, v[14:17], off offset:96
	scratch_store_b128 off, v[14:17], off offset:368
	scratch_store_b128 off, v[14:17], off offset:384
	scratch_store_b128 off, v[14:17], off offset:112
	scratch_store_b128 off, v[14:17], off offset:128
	scratch_store_b128 off, v[14:17], off offset:400
	scratch_store_b128 off, v[14:17], off offset:416
	scratch_store_b128 off, v[14:17], off offset:144
	scratch_store_b128 off, v[14:17], off offset:160
	scratch_store_b128 off, v[14:17], off offset:432
	scratch_store_b128 off, v[14:17], off offset:448
	scratch_store_b128 off, v[14:17], off offset:176
	scratch_store_b128 off, v[14:17], off offset:192
	scratch_store_b64 off, v[18:19], off offset:464
	scratch_store_b64 off, v[18:19], off offset:208
	scratch_store_b128 off, v[14:17], off offset:32
	scratch_store_b128 off, v[3:6], off
	; meta instruction
	; meta instruction
	scratch_store_b128 off, v[14:17], off offset:288
	s_waitcnt vmcnt(0)
	scratch_store_b128 off, v[7:10], off offset:256
	v_cmpx_lt_i32_e32 0, v13
	s_cbranch_execz .LBB15_49
; %bb.9:                                ;   in Loop: Header=BB15_4 Depth=1
	global_load_b32 v4, v2, s[58:59]
	s_getpc_b64 s[0:1]
	s_add_u32 s0, s0, P@rel32@lo+4
	s_addc_u32 s1, s1, P@rel32@hi+12
	ds_load_b32 v14, v47
	global_load_b64 v[2:3], v74, s[0:1]
	v_mov_b32_e32 v5, v74
	s_mov_b32 s5, 0
	s_mov_b32 s8, 0
	;; [unrolled: 1-line block ×3, first 2 shown]
                                        ; implicit-def: $sgpr9
                                        ; implicit-def: $sgpr11
                                        ; implicit-def: $sgpr10
                                        ; implicit-def: $sgpr12
                                        ; implicit-def: $sgpr13
	s_waitcnt lgkmcnt(0)
	v_cmp_lt_i32_e64 s0, 0, v14
	s_waitcnt vmcnt(1)
	v_and_b32_e32 v4, 15, v4
	s_branch .LBB15_13
.LBB15_10:                              ;   in Loop: Header=BB15_13 Depth=2
	s_or_b32 exec_lo, exec_lo, s17
	s_add_i32 s4, s4, 1
	s_xor_b32 s2, exec_lo, -1
	v_cmp_eq_u32_e32 vcc_lo, s4, v13
	s_or_not1_b32 s1, vcc_lo, exec_lo
.LBB15_11:                              ;   in Loop: Header=BB15_13 Depth=2
	s_or_b32 exec_lo, exec_lo, s16
	s_delay_alu instid0(SALU_CYCLE_1)
	s_and_not1_b32 s6, s13, exec_lo
	s_and_b32 s2, s2, exec_lo
	s_and_not1_b32 s7, s12, exec_lo
	s_and_b32 s1, s1, exec_lo
	s_or_b32 s13, s6, s2
	s_or_b32 s12, s7, s1
.LBB15_12:                              ;   in Loop: Header=BB15_13 Depth=2
	s_or_b32 exec_lo, exec_lo, s15
	s_xor_b32 s1, s13, -1
	s_and_b32 s2, exec_lo, s12
	s_delay_alu instid0(SALU_CYCLE_1)
	s_or_b32 s8, s2, s8
	s_and_not1_b32 s2, s10, exec_lo
	s_and_b32 s6, s14, exec_lo
	s_and_not1_b32 s7, s11, exec_lo
	s_or_b32 s10, s2, s6
	s_and_b32 s2, s5, exec_lo
	s_and_not1_b32 s6, s9, exec_lo
	s_and_b32 s1, s1, exec_lo
	s_or_b32 s11, s7, s2
	s_or_b32 s9, s6, s1
	s_and_not1_b32 exec_lo, exec_lo, s8
	s_cbranch_execz .LBB15_48
.LBB15_13:                              ;   Parent Loop BB15_4 Depth=1
                                        ; =>  This Loop Header: Depth=2
                                        ;       Child Loop BB15_26 Depth 3
                                        ;       Child Loop BB15_41 Depth 3
	s_lshl_b64 s[6:7], s[4:5], 2
	s_delay_alu instid0(SALU_CYCLE_1)
	s_add_u32 s14, s6, s81
	s_addc_u32 s15, s7, s82
	s_or_b32 s13, s13, exec_lo
	v_mad_i64_i32 v[6:7], null, 0xf0, v42, s[14:15]
	s_mov_b32 s14, -1
	s_or_b32 s12, s12, exec_lo
	s_mov_b32 s15, exec_lo
	global_load_b32 v6, v[6:7], off
	s_waitcnt vmcnt(0)
	v_lshl_add_u32 v7, v6, 2, 0x100
	scratch_load_b32 v8, v7, off
	s_waitcnt vmcnt(0)
	v_cmpx_ne_u32_e32 -1, v8
	s_cbranch_execz .LBB15_12
; %bb.14:                               ;   in Loop: Header=BB15_13 Depth=2
	s_add_u32 s16, s6, s83
	s_addc_u32 s17, s7, s84
	s_mov_b32 s1, -1
	v_mad_i64_i32 v[9:10], null, 0xf0, v42, s[16:17]
	s_mov_b32 s2, -1
	s_mov_b32 s16, exec_lo
	global_load_b32 v7, v[9:10], off
	s_waitcnt vmcnt(0)
	v_lshl_add_u32 v9, v7, 2, 0x100
	scratch_load_b32 v9, v9, off
	s_waitcnt vmcnt(0)
	v_cmpx_ne_u32_e32 -1, v9
	s_cbranch_execz .LBB15_11
; %bb.15:                               ;   in Loop: Header=BB15_13 Depth=2
	v_lshl_add_u32 v10, v6, 2, 0
	v_max_i32_e32 v8, v8, v9
	s_lshl_b32 s18, s4, 2
	s_mov_b32 s17, exec_lo
	v_add_nc_u32_e32 v15, s18, v60
	scratch_load_b32 v16, v10, off
	v_add_nc_u32_e32 v8, 1, v8
	scratch_store_b32 v15, v8, off
	s_waitcnt vmcnt(0)
	v_cmpx_ne_u32_e32 -1, v16
	s_cbranch_execz .LBB15_10
; %bb.16:                               ;   in Loop: Header=BB15_13 Depth=2
	v_lshl_add_u32 v8, v7, 2, 0
	v_cmp_ne_u32_e64 s1, v16, v44
	scratch_load_b32 v8, v8, off
	s_waitcnt vmcnt(0)
	v_cmp_ne_u32_e32 vcc_lo, -1, v8
	v_cmp_ne_u32_e64 s2, v8, v44
	s_and_b32 s1, s1, vcc_lo
	s_delay_alu instid0(VALU_DEP_1) | instid1(SALU_CYCLE_1)
	s_and_b32 s1, s2, s1
	s_delay_alu instid0(SALU_CYCLE_1)
	s_and_b32 exec_lo, exec_lo, s1
	s_cbranch_execz .LBB15_10
; %bb.17:                               ;   in Loop: Header=BB15_13 Depth=2
	s_add_u32 s20, s6, s85
	s_addc_u32 s21, s7, s86
	s_add_u32 s6, s6, s87
	s_addc_u32 s7, s7, s88
	v_mad_i64_i32 v[11:12], null, 0xf0, v42, s[20:21]
	v_mad_i64_i32 v[9:10], null, 0xf0, v42, s[6:7]
	v_mov_b32_e32 v19, v8
	s_mov_b32 s1, exec_lo
	s_clause 0x1
	global_load_b32 v17, v[9:10], off
	global_load_b32 v11, v[11:12], off
	v_lshrrev_b64 v[9:10], v7, v[4:5]
	v_lshrrev_b64 v[6:7], v6, v[4:5]
	s_delay_alu instid0(VALU_DEP_2) | instskip(NEXT) | instid1(VALU_DEP_2)
	v_and_b32_e32 v7, 1, v9
	v_and_b32_e32 v9, 1, v6
	s_waitcnt vmcnt(1)
	s_delay_alu instid0(VALU_DEP_2) | instskip(SKIP_1) | instid1(VALU_DEP_2)
	v_xor_b32_e32 v6, v17, v7
	s_waitcnt vmcnt(0)
	v_xor_b32_e32 v17, v11, v9
	s_delay_alu instid0(VALU_DEP_2)
	v_mov_b32_e32 v18, v6
	v_cmpx_gt_i32_e64 v16, v8
; %bb.18:                               ;   in Loop: Header=BB15_13 Depth=2
	s_delay_alu instid0(VALU_DEP_3)
	v_dual_mov_b32 v18, v17 :: v_dual_mov_b32 v17, v6
	v_mov_b32_e32 v19, v16
	v_mov_b32_e32 v16, v8
; %bb.19:                               ;   in Loop: Header=BB15_13 Depth=2
	s_or_b32 exec_lo, exec_lo, s1
	global_load_b32 v10, v[2:3], off
	v_mul_lo_u32 v6, 0x38f, v17
	v_mul_lo_u32 v7, 0x161, v18
	v_mul_lo_u32 v8, 0x1f01, v16
	v_mul_lo_u32 v9, 0xb9b, v19
	s_mov_b32 s1, exec_lo
	s_delay_alu instid0(VALU_DEP_3) | instskip(NEXT) | instid1(VALU_DEP_1)
	v_xor_b32_e32 v6, v6, v7
	v_xor3_b32 v6, v6, v9, v8
                                        ; implicit-def: $vgpr8_vgpr9
	s_delay_alu instid0(VALU_DEP_1) | instskip(SKIP_2) | instid1(VALU_DEP_1)
	v_ashrrev_i32_e32 v11, 31, v6
	s_waitcnt vmcnt(0)
	v_ashrrev_i32_e32 v7, 31, v10
	v_or_b32_e32 v75, v11, v7
	s_delay_alu instid0(VALU_DEP_1)
	v_cmpx_ne_u64_e32 0, v[74:75]
	s_xor_b32 s2, exec_lo, s1
	s_cbranch_execz .LBB15_21
; %bb.20:                               ;   in Loop: Header=BB15_13 Depth=2
	v_cvt_f32_u32_e32 v8, v10
	v_cvt_f32_u32_e32 v9, v7
	v_sub_co_u32 v12, vcc_lo, 0, v10
	v_sub_co_ci_u32_e32 v20, vcc_lo, 0, v7, vcc_lo
	s_delay_alu instid0(VALU_DEP_3) | instskip(NEXT) | instid1(VALU_DEP_1)
	v_fmac_f32_e32 v8, 0x4f800000, v9
	v_rcp_f32_e32 v8, v8
	s_waitcnt_depctr 0xfff
	v_mul_f32_e32 v8, 0x5f7ffffc, v8
	s_delay_alu instid0(VALU_DEP_1) | instskip(NEXT) | instid1(VALU_DEP_1)
	v_mul_f32_e32 v9, 0x2f800000, v8
	v_trunc_f32_e32 v9, v9
	s_delay_alu instid0(VALU_DEP_1) | instskip(SKIP_1) | instid1(VALU_DEP_2)
	v_fmac_f32_e32 v8, 0xcf800000, v9
	v_cvt_u32_f32_e32 v9, v9
	v_cvt_u32_f32_e32 v8, v8
	s_delay_alu instid0(VALU_DEP_2) | instskip(NEXT) | instid1(VALU_DEP_2)
	v_mul_lo_u32 v21, v12, v9
	v_mul_hi_u32 v22, v12, v8
	v_mul_lo_u32 v23, v20, v8
	s_delay_alu instid0(VALU_DEP_2) | instskip(SKIP_1) | instid1(VALU_DEP_2)
	v_add_nc_u32_e32 v21, v22, v21
	v_mul_lo_u32 v22, v12, v8
	v_add_nc_u32_e32 v21, v21, v23
	s_delay_alu instid0(VALU_DEP_2) | instskip(NEXT) | instid1(VALU_DEP_2)
	v_mul_hi_u32 v23, v8, v22
	v_mul_lo_u32 v24, v8, v21
	v_mul_hi_u32 v25, v8, v21
	v_mul_hi_u32 v26, v9, v22
	v_mul_lo_u32 v22, v9, v22
	v_mul_hi_u32 v27, v9, v21
	v_mul_lo_u32 v21, v9, v21
	v_add_co_u32 v23, vcc_lo, v23, v24
	v_add_co_ci_u32_e32 v24, vcc_lo, 0, v25, vcc_lo
	s_delay_alu instid0(VALU_DEP_2) | instskip(NEXT) | instid1(VALU_DEP_2)
	v_add_co_u32 v22, vcc_lo, v23, v22
	v_add_co_ci_u32_e32 v22, vcc_lo, v24, v26, vcc_lo
	v_add_co_ci_u32_e32 v23, vcc_lo, 0, v27, vcc_lo
	s_delay_alu instid0(VALU_DEP_2) | instskip(NEXT) | instid1(VALU_DEP_2)
	v_add_co_u32 v21, vcc_lo, v22, v21
	v_add_co_ci_u32_e32 v22, vcc_lo, 0, v23, vcc_lo
	s_delay_alu instid0(VALU_DEP_2) | instskip(NEXT) | instid1(VALU_DEP_2)
	v_add_co_u32 v8, vcc_lo, v8, v21
	v_add_co_ci_u32_e32 v9, vcc_lo, v9, v22, vcc_lo
	s_delay_alu instid0(VALU_DEP_2) | instskip(SKIP_1) | instid1(VALU_DEP_3)
	v_mul_hi_u32 v21, v12, v8
	v_mul_lo_u32 v20, v20, v8
	v_mul_lo_u32 v22, v12, v9
	;; [unrolled: 1-line block ×3, first 2 shown]
	s_delay_alu instid0(VALU_DEP_2) | instskip(NEXT) | instid1(VALU_DEP_2)
	v_add_nc_u32_e32 v21, v21, v22
	v_mul_hi_u32 v24, v9, v12
	s_delay_alu instid0(VALU_DEP_2) | instskip(SKIP_2) | instid1(VALU_DEP_3)
	v_add_nc_u32_e32 v20, v21, v20
	v_mul_hi_u32 v21, v8, v12
	v_mul_lo_u32 v12, v9, v12
	v_mul_lo_u32 v22, v8, v20
	v_mul_hi_u32 v23, v8, v20
	v_mul_hi_u32 v25, v9, v20
	v_mul_lo_u32 v20, v9, v20
	s_delay_alu instid0(VALU_DEP_4) | instskip(NEXT) | instid1(VALU_DEP_4)
	v_add_co_u32 v21, vcc_lo, v21, v22
	v_add_co_ci_u32_e32 v22, vcc_lo, 0, v23, vcc_lo
	s_delay_alu instid0(VALU_DEP_2) | instskip(NEXT) | instid1(VALU_DEP_2)
	v_add_co_u32 v12, vcc_lo, v21, v12
	v_add_co_ci_u32_e32 v12, vcc_lo, v22, v24, vcc_lo
	v_add_co_ci_u32_e32 v21, vcc_lo, 0, v25, vcc_lo
	s_delay_alu instid0(VALU_DEP_2) | instskip(NEXT) | instid1(VALU_DEP_2)
	v_add_co_u32 v12, vcc_lo, v12, v20
	v_add_co_ci_u32_e32 v20, vcc_lo, 0, v21, vcc_lo
	s_delay_alu instid0(VALU_DEP_2) | instskip(NEXT) | instid1(VALU_DEP_2)
	v_add_co_u32 v12, vcc_lo, v8, v12
	v_add_co_ci_u32_e32 v24, vcc_lo, v9, v20, vcc_lo
	s_delay_alu instid0(VALU_DEP_2) | instskip(SKIP_1) | instid1(VALU_DEP_3)
	v_mul_hi_u32 v25, v6, v12
	v_mad_u64_u32 v[20:21], null, v11, v12, 0
	v_mad_u64_u32 v[8:9], null, v6, v24, 0
	;; [unrolled: 1-line block ×3, first 2 shown]
	s_delay_alu instid0(VALU_DEP_2) | instskip(NEXT) | instid1(VALU_DEP_3)
	v_add_co_u32 v8, vcc_lo, v25, v8
	v_add_co_ci_u32_e32 v9, vcc_lo, 0, v9, vcc_lo
	s_delay_alu instid0(VALU_DEP_2) | instskip(NEXT) | instid1(VALU_DEP_2)
	v_add_co_u32 v8, vcc_lo, v8, v20
	v_add_co_ci_u32_e32 v8, vcc_lo, v9, v21, vcc_lo
	v_add_co_ci_u32_e32 v9, vcc_lo, 0, v23, vcc_lo
	s_delay_alu instid0(VALU_DEP_2) | instskip(NEXT) | instid1(VALU_DEP_2)
	v_add_co_u32 v12, vcc_lo, v8, v22
	v_add_co_ci_u32_e32 v20, vcc_lo, 0, v9, vcc_lo
	s_delay_alu instid0(VALU_DEP_2) | instskip(SKIP_1) | instid1(VALU_DEP_3)
	v_mul_lo_u32 v21, v7, v12
	v_mad_u64_u32 v[8:9], null, v10, v12, 0
	v_mul_lo_u32 v12, v10, v20
	s_delay_alu instid0(VALU_DEP_2) | instskip(NEXT) | instid1(VALU_DEP_2)
	v_sub_co_u32 v6, vcc_lo, v6, v8
	v_add3_u32 v9, v9, v12, v21
	s_delay_alu instid0(VALU_DEP_1) | instskip(NEXT) | instid1(VALU_DEP_1)
	v_sub_nc_u32_e32 v12, v11, v9
	v_sub_co_ci_u32_e64 v8, s1, v12, v7, vcc_lo
	v_sub_co_ci_u32_e32 v9, vcc_lo, v11, v9, vcc_lo
	v_sub_co_u32 v11, vcc_lo, v6, v10
	s_delay_alu instid0(VALU_DEP_1) | instskip(SKIP_3) | instid1(VALU_DEP_3)
	v_subrev_co_ci_u32_e64 v12, s1, 0, v8, vcc_lo
	v_cmp_ge_u32_e64 s1, v6, v10
	v_sub_co_ci_u32_e32 v8, vcc_lo, v8, v7, vcc_lo
	v_cmp_ge_u32_e32 vcc_lo, v9, v7
	v_cndmask_b32_e64 v20, 0, -1, s1
	v_cmp_ge_u32_e64 s1, v11, v10
	v_cndmask_b32_e64 v23, 0, -1, vcc_lo
	v_cmp_eq_u32_e32 vcc_lo, v12, v7
	s_delay_alu instid0(VALU_DEP_3) | instskip(SKIP_1) | instid1(VALU_DEP_1)
	v_cndmask_b32_e64 v21, 0, -1, s1
	v_cmp_ge_u32_e64 s1, v12, v7
	v_cndmask_b32_e64 v22, 0, -1, s1
	v_cmp_eq_u32_e64 s1, v9, v7
	s_delay_alu instid0(VALU_DEP_2) | instskip(SKIP_2) | instid1(VALU_DEP_3)
	v_cndmask_b32_e32 v21, v22, v21, vcc_lo
	v_sub_co_u32 v10, vcc_lo, v11, v10
	v_subrev_co_ci_u32_e32 v8, vcc_lo, 0, v8, vcc_lo
	v_cmp_ne_u32_e32 vcc_lo, 0, v21
	v_cndmask_b32_e64 v7, v23, v20, s1
	s_delay_alu instid0(VALU_DEP_3) | instskip(SKIP_1) | instid1(VALU_DEP_3)
	v_cndmask_b32_e32 v8, v12, v8, vcc_lo
	v_cndmask_b32_e32 v10, v11, v10, vcc_lo
	v_cmp_ne_u32_e32 vcc_lo, 0, v7
	s_delay_alu instid0(VALU_DEP_2)
	v_dual_cndmask_b32 v9, v9, v8 :: v_dual_cndmask_b32 v8, v6, v10
                                        ; implicit-def: $vgpr10
                                        ; implicit-def: $vgpr6_vgpr7
.LBB15_21:                              ;   in Loop: Header=BB15_13 Depth=2
	s_and_not1_saveexec_b32 s1, s2
	s_cbranch_execz .LBB15_23
; %bb.22:                               ;   in Loop: Header=BB15_13 Depth=2
	v_cvt_f32_u32_e32 v7, v10
	v_sub_nc_u32_e32 v8, 0, v10
	v_mov_b32_e32 v9, v74
	s_delay_alu instid0(VALU_DEP_3) | instskip(SKIP_2) | instid1(VALU_DEP_1)
	v_rcp_iflag_f32_e32 v7, v7
	s_waitcnt_depctr 0xfff
	v_mul_f32_e32 v7, 0x4f7ffffe, v7
	v_cvt_u32_f32_e32 v7, v7
	s_delay_alu instid0(VALU_DEP_1) | instskip(NEXT) | instid1(VALU_DEP_1)
	v_mul_lo_u32 v8, v8, v7
	v_mul_hi_u32 v8, v7, v8
	s_delay_alu instid0(VALU_DEP_1) | instskip(NEXT) | instid1(VALU_DEP_1)
	v_add_nc_u32_e32 v7, v7, v8
	v_mul_hi_u32 v7, v6, v7
	s_delay_alu instid0(VALU_DEP_1) | instskip(NEXT) | instid1(VALU_DEP_1)
	v_mul_lo_u32 v7, v7, v10
	v_sub_nc_u32_e32 v6, v6, v7
	s_delay_alu instid0(VALU_DEP_1) | instskip(SKIP_1) | instid1(VALU_DEP_2)
	v_sub_nc_u32_e32 v7, v6, v10
	v_cmp_ge_u32_e32 vcc_lo, v6, v10
	v_cndmask_b32_e32 v6, v6, v7, vcc_lo
	s_delay_alu instid0(VALU_DEP_1) | instskip(SKIP_1) | instid1(VALU_DEP_2)
	v_sub_nc_u32_e32 v7, v6, v10
	v_cmp_ge_u32_e32 vcc_lo, v6, v10
	v_cndmask_b32_e32 v8, v6, v7, vcc_lo
.LBB15_23:                              ;   in Loop: Header=BB15_13 Depth=2
	s_or_b32 exec_lo, exec_lo, s1
	s_delay_alu instid0(VALU_DEP_1) | instskip(SKIP_1) | instid1(VALU_DEP_1)
	v_lshlrev_b64 v[6:7], 3, v[8:9]
	s_mov_b32 s1, exec_lo
	v_add_co_u32 v6, vcc_lo, s60, v6
	s_delay_alu instid0(VALU_DEP_2)
	v_add_co_ci_u32_e32 v7, vcc_lo, s61, v7, vcc_lo
	global_load_b32 v8, v[6:7], off offset:4
	v_mov_b32_e32 v6, -1
	s_waitcnt vmcnt(0)
	v_cmpx_ne_u32_e32 -1, v8
	s_cbranch_execz .LBB15_37
; %bb.24:                               ;   in Loop: Header=BB15_13 Depth=2
	s_mov_b32 s2, 0
                                        ; implicit-def: $vgpr20
	s_branch .LBB15_26
.LBB15_25:                              ;   in Loop: Header=BB15_26 Depth=3
	s_or_b32 exec_lo, exec_lo, s7
	v_mov_b32_e32 v20, v7
	s_and_b32 s6, exec_lo, s6
	s_delay_alu instid0(SALU_CYCLE_1) | instskip(NEXT) | instid1(SALU_CYCLE_1)
	s_or_b32 s2, s6, s2
	s_and_not1_b32 exec_lo, exec_lo, s2
	s_cbranch_execz .LBB15_36
.LBB15_26:                              ;   Parent Loop BB15_4 Depth=1
                                        ;     Parent Loop BB15_13 Depth=2
                                        ; =>    This Inner Loop Header: Depth=3
	v_ashrrev_i32_e32 v9, 31, v8
	s_mov_b32 s7, exec_lo
                                        ; implicit-def: $sgpr19
	s_delay_alu instid0(VALU_DEP_1) | instskip(NEXT) | instid1(VALU_DEP_1)
	v_lshlrev_b64 v[6:7], 3, v[8:9]
	v_add_co_u32 v9, vcc_lo, s60, v6
	s_delay_alu instid0(VALU_DEP_2) | instskip(SKIP_3) | instid1(VALU_DEP_1)
	v_add_co_ci_u32_e32 v10, vcc_lo, s61, v7, vcc_lo
	global_load_b32 v7, v[9:10], off
	s_waitcnt vmcnt(0)
	v_ashrrev_i32_e32 v8, 31, v7
	v_lshlrev_b64 v[11:12], 2, v[7:8]
	s_delay_alu instid0(VALU_DEP_1) | instskip(NEXT) | instid1(VALU_DEP_2)
	v_add_co_u32 v21, vcc_lo, s42, v11
	v_add_co_ci_u32_e32 v22, vcc_lo, s43, v12, vcc_lo
	global_load_b32 v6, v[21:22], off
	s_waitcnt vmcnt(0)
	v_cmp_ne_u32_e64 s6, v6, v16
	v_cmpx_eq_u32_e64 v6, v16
	s_cbranch_execz .LBB15_32
; %bb.27:                               ;   in Loop: Header=BB15_26 Depth=3
	v_add_co_u32 v21, vcc_lo, s44, v11
	v_add_co_ci_u32_e32 v22, vcc_lo, s45, v12, vcc_lo
	s_mov_b32 s21, exec_lo
                                        ; implicit-def: $sgpr19
	global_load_b32 v6, v[21:22], off
	s_waitcnt vmcnt(0)
	v_cmp_ne_u32_e64 s20, v6, v19
	v_cmpx_eq_u32_e64 v6, v19
	s_cbranch_execz .LBB15_31
; %bb.28:                               ;   in Loop: Header=BB15_26 Depth=3
	v_add_co_u32 v21, vcc_lo, s46, v11
	v_add_co_ci_u32_e32 v22, vcc_lo, s47, v12, vcc_lo
	s_mov_b32 s23, exec_lo
                                        ; implicit-def: $sgpr19
	global_load_b32 v6, v[21:22], off
	s_waitcnt vmcnt(0)
	v_cmp_ne_u32_e64 s22, v6, v17
	v_cmpx_eq_u32_e64 v6, v17
	s_cbranch_execz .LBB15_30
; %bb.29:                               ;   in Loop: Header=BB15_26 Depth=3
	v_add_co_u32 v11, vcc_lo, s48, v11
	v_add_co_ci_u32_e32 v12, vcc_lo, s49, v12, vcc_lo
	s_and_not1_b32 s22, s22, exec_lo
	s_mov_b32 s19, 0
	global_load_b32 v6, v[11:12], off
	s_waitcnt vmcnt(0)
	v_cmp_ne_u32_e32 vcc_lo, v6, v18
	s_and_b32 s24, vcc_lo, exec_lo
	s_delay_alu instid0(SALU_CYCLE_1)
	s_or_b32 s22, s22, s24
.LBB15_30:                              ;   in Loop: Header=BB15_26 Depth=3
	s_or_b32 exec_lo, exec_lo, s23
	s_delay_alu instid0(SALU_CYCLE_1) | instskip(SKIP_1) | instid1(SALU_CYCLE_1)
	s_and_not1_b32 s20, s20, exec_lo
	s_and_b32 s22, s22, exec_lo
	s_or_b32 s20, s20, s22
.LBB15_31:                              ;   in Loop: Header=BB15_26 Depth=3
	s_or_b32 exec_lo, exec_lo, s21
	s_delay_alu instid0(SALU_CYCLE_1) | instskip(SKIP_1) | instid1(SALU_CYCLE_1)
	s_and_not1_b32 s6, s6, exec_lo
	s_and_b32 s20, s20, exec_lo
	s_or_b32 s6, s6, s20
.LBB15_32:                              ;   in Loop: Header=BB15_26 Depth=3
	s_or_b32 exec_lo, exec_lo, s7
	s_delay_alu instid0(VALU_DEP_2)
	s_and_saveexec_b32 s7, s6
; %bb.33:                               ;   in Loop: Header=BB15_26 Depth=3
	v_mov_b32_e32 v7, v20
	s_or_b32 s19, s19, exec_lo
; %bb.34:                               ;   in Loop: Header=BB15_26 Depth=3
	s_or_b32 exec_lo, exec_lo, s7
	s_delay_alu instid0(VALU_DEP_1)
	v_mov_b32_e32 v6, v7
	s_mov_b32 s6, -1
                                        ; implicit-def: $vgpr8
	s_and_saveexec_b32 s7, s19
	s_cbranch_execz .LBB15_25
; %bb.35:                               ;   in Loop: Header=BB15_26 Depth=3
	global_load_b32 v8, v[9:10], off offset:4
	v_mov_b32_e32 v6, -1
	s_waitcnt vmcnt(0)
	v_cmp_eq_u32_e32 vcc_lo, -1, v8
	s_or_not1_b32 s6, vcc_lo, exec_lo
	s_branch .LBB15_25
.LBB15_36:                              ;   in Loop: Header=BB15_13 Depth=2
	s_or_b32 exec_lo, exec_lo, s2
.LBB15_37:                              ;   in Loop: Header=BB15_13 Depth=2
	s_delay_alu instid0(SALU_CYCLE_1)
	s_or_b32 exec_lo, exec_lo, s1
	v_cmp_ne_u32_e32 vcc_lo, -1, v6
	s_and_b32 exec_lo, exec_lo, vcc_lo
	s_cbranch_execz .LBB15_10
; %bb.38:                               ;   in Loop: Header=BB15_13 Depth=2
	v_mov_b32_e32 v8, 0
	s_and_saveexec_b32 s1, s0
	s_cbranch_execz .LBB15_46
; %bb.39:                               ;   in Loop: Header=BB15_13 Depth=2
	v_mov_b32_e32 v7, v56
	s_mov_b32 s2, 0
	s_mov_b32 s20, 0
                                        ; implicit-def: $sgpr6
                                        ; implicit-def: $sgpr19
                                        ; implicit-def: $sgpr7
	s_set_inst_prefetch_distance 0x1
	s_branch .LBB15_41
	.p2align	6
.LBB15_40:                              ;   in Loop: Header=BB15_41 Depth=3
	s_or_b32 exec_lo, exec_lo, s23
	s_delay_alu instid0(SALU_CYCLE_1) | instskip(SKIP_4) | instid1(SALU_CYCLE_1)
	s_and_b32 s23, exec_lo, s19
	v_dual_mov_b32 v8, s22 :: v_dual_mov_b32 v9, s20
	s_or_b32 s2, s23, s2
	s_and_not1_b32 s6, s6, exec_lo
	s_and_b32 s20, s7, exec_lo
	s_or_b32 s6, s6, s20
	s_mov_b32 s20, s21
	s_and_not1_b32 exec_lo, exec_lo, s2
	s_cbranch_execz .LBB15_43
.LBB15_41:                              ;   Parent Loop BB15_4 Depth=1
                                        ;     Parent Loop BB15_13 Depth=2
                                        ; =>    This Inner Loop Header: Depth=3
	ds_load_b32 v8, v7
	s_or_b32 s7, s7, exec_lo
	s_or_b32 s19, s19, exec_lo
	s_mov_b32 s23, exec_lo
                                        ; implicit-def: $sgpr21
                                        ; implicit-def: $sgpr22
	s_waitcnt lgkmcnt(0)
	v_cmpx_ne_u32_e64 v8, v6
	s_cbranch_execz .LBB15_40
; %bb.42:                               ;   in Loop: Header=BB15_41 Depth=3
	s_add_i32 s21, s20, 1
	v_add_nc_u32_e32 v7, 4, v7
	v_cmp_eq_u32_e32 vcc_lo, s21, v14
	s_and_not1_b32 s19, s19, exec_lo
	s_mov_b32 s22, 0
	s_and_not1_b32 s7, s7, exec_lo
	s_and_b32 s24, vcc_lo, exec_lo
	s_delay_alu instid0(SALU_CYCLE_1)
	s_or_b32 s19, s19, s24
	s_branch .LBB15_40
.LBB15_43:                              ;   in Loop: Header=BB15_13 Depth=2
	s_set_inst_prefetch_distance 0x2
	s_or_b32 exec_lo, exec_lo, s2
	s_and_saveexec_b32 s2, s6
	s_delay_alu instid0(SALU_CYCLE_1)
	s_xor_b32 s2, exec_lo, s2
	s_cbranch_execz .LBB15_45
; %bb.44:                               ;   in Loop: Header=BB15_13 Depth=2
	v_lshl_add_u32 v7, v9, 2, 0xe0
	scratch_load_b32 v7, v7, off
	s_waitcnt vmcnt(0)
	v_cmp_eq_u32_e32 vcc_lo, 0, v7
	v_cndmask_b32_e64 v8, 0, 1, vcc_lo
.LBB15_45:                              ;   in Loop: Header=BB15_13 Depth=2
	s_or_b32 exec_lo, exec_lo, s2
.LBB15_46:                              ;   in Loop: Header=BB15_13 Depth=2
	s_delay_alu instid0(SALU_CYCLE_1) | instskip(NEXT) | instid1(VALU_DEP_1)
	s_or_b32 exec_lo, exec_lo, s1
	v_cmp_eq_u32_e32 vcc_lo, 0, v8
	s_and_b32 exec_lo, exec_lo, vcc_lo
	s_cbranch_execz .LBB15_10
; %bb.47:                               ;   in Loop: Header=BB15_13 Depth=2
	v_ashrrev_i32_e32 v7, 31, v6
	s_delay_alu instid0(VALU_DEP_1) | instskip(NEXT) | instid1(VALU_DEP_1)
	v_lshlrev_b64 v[7:8], 2, v[6:7]
	v_add_co_u32 v7, vcc_lo, s50, v7
	s_delay_alu instid0(VALU_DEP_2)
	v_add_co_ci_u32_e32 v8, vcc_lo, s51, v8, vcc_lo
	global_load_b32 v7, v[7:8], off
	v_add_nc_u32_e32 v8, s18, v77
	scratch_store_b32 v8, v6, off
	s_waitcnt vmcnt(0)
	scratch_store_b32 v15, v7, off
	s_branch .LBB15_10
.LBB15_48:                              ;   in Loop: Header=BB15_4 Depth=1
	s_or_b32 exec_lo, exec_lo, s8
	s_delay_alu instid0(SALU_CYCLE_1)
	s_and_b32 s66, s11, exec_lo
	s_and_b32 s65, s10, exec_lo
	s_or_not1_b32 s1, s9, exec_lo
.LBB15_49:                              ;   in Loop: Header=BB15_4 Depth=1
	s_or_b32 exec_lo, exec_lo, s3
	s_mov_b32 s0, s98
	s_and_saveexec_b32 s2, s1
	s_delay_alu instid0(SALU_CYCLE_1)
	s_xor_b32 s67, exec_lo, s2
	s_cbranch_execz .LBB15_67
; %bb.50:                               ;   in Loop: Header=BB15_4 Depth=1
	v_add_co_u32 v0, vcc_lo, s90, v0
	v_add_co_ci_u32_e32 v1, vcc_lo, s70, v1, vcc_lo
	s_mov_b32 s2, -1
	s_mov_b32 s100, exec_lo
                                        ; implicit-def: $sgpr0
                                        ; implicit-def: $sgpr1
	global_load_b32 v79, v[0:1], off
	s_waitcnt vmcnt(0)
	v_cmpx_lt_i32_e32 0, v79
	s_cbranch_execz .LBB15_64
; %bb.51:                               ;   in Loop: Header=BB15_4 Depth=1
	v_readlane_b32 s0, v90, 1
	v_readlane_b32 s1, v90, 2
	s_mov_b32 s102, -2
	s_mov_b32 s101, 0
	s_mov_b32 s103, 0
                                        ; implicit-def: $sgpr91
                                        ; implicit-def: $sgpr72
                                        ; implicit-def: $sgpr104
	s_delay_alu instid0(VALU_DEP_1)
	v_mad_i64_i32 v[75:76], null, 0x50, v42, s[0:1]
	s_branch .LBB15_53
.LBB15_52:                              ;   in Loop: Header=BB15_53 Depth=2
	s_or_b32 exec_lo, exec_lo, s4
	s_xor_b32 s0, s0, -1
	s_and_b32 s3, exec_lo, s75
	s_delay_alu instid0(SALU_CYCLE_1)
	s_or_b32 s101, s3, s101
	s_and_not1_b32 s3, s104, exec_lo
	s_and_b32 s0, s0, exec_lo
	s_and_not1_b32 s4, s72, exec_lo
	s_or_b32 s104, s3, s0
	s_and_b32 s0, s1, exec_lo
	s_and_not1_b32 s1, s91, exec_lo
	s_and_b32 s2, s2, exec_lo
	s_or_b32 s72, s4, s0
	s_or_b32 s91, s1, s2
	s_and_not1_b32 exec_lo, exec_lo, s101
	s_cbranch_execz .LBB15_63
.LBB15_53:                              ;   Parent Loop BB15_4 Depth=1
                                        ; =>  This Inner Loop Header: Depth=2
	global_load_b32 v43, v[75:76], off
	s_mov_b32 s75, -1
	s_mov_b32 s3, -1
	s_mov_b32 s89, exec_lo
                                        ; implicit-def: $sgpr1
                                        ; implicit-def: $sgpr2
	s_waitcnt vmcnt(0)
	v_lshl_add_u32 v0, v43, 2, 0
	scratch_load_b32 v0, v0, off
	s_waitcnt vmcnt(0)
	v_cmpx_ne_u32_e64 v0, v44
	s_cbranch_execz .LBB15_61
; %bb.54:                               ;   in Loop: Header=BB15_53 Depth=2
	v_dual_mov_b32 v0, v43 :: v_dual_mov_b32 v1, s38
	v_dual_mov_b32 v2, s39 :: v_dual_mov_b32 v3, v42
	;; [unrolled: 1-line block ×3, first 2 shown]
	v_mov_b32_e32 v6, s102
	s_getpc_b64 s[0:1]
	s_add_u32 s0, s0, _Z4EvaliPiiPN2rw7LibraryEi@rel32@lo+4
	s_addc_u32 s1, s1, _Z4EvaliPiiPN2rw7LibraryEi@rel32@hi+12
	s_delay_alu instid0(SALU_CYCLE_1)
	s_swappc_b64 s[30:31], s[0:1]
	v_lshl_add_u32 v1, v43, 2, 0x100
	s_mov_b32 s1, 0
	s_mov_b32 s0, 0
	s_mov_b32 s2, exec_lo
	scratch_load_b32 v1, v1, off
	s_waitcnt vmcnt(0)
	v_cmpx_ne_u32_e32 -1, v1
	s_cbranch_execz .LBB15_60
; %bb.55:                               ;   in Loop: Header=BB15_53 Depth=2
	v_sub_nc_u32_e32 v0, v57, v0
	v_max_i32_e32 v3, 0, v78
	s_delay_alu instid0(VALU_DEP_2) | instskip(NEXT) | instid1(VALU_DEP_2)
	v_or_b32_e32 v2, s74, v0
	v_cmp_le_i32_e64 s0, v3, v0
	s_delay_alu instid0(VALU_DEP_2) | instskip(NEXT) | instid1(VALU_DEP_2)
	v_cmp_ne_u32_e32 vcc_lo, 0, v2
	s_and_b32 s0, s0, vcc_lo
	s_delay_alu instid0(SALU_CYCLE_1)
	s_and_saveexec_b32 s3, s0
	s_cbranch_execz .LBB15_59
; %bb.56:                               ;   in Loop: Header=BB15_53 Depth=2
	v_cmp_ne_u32_e32 vcc_lo, v0, v78
	v_cmp_lt_i32_e64 s0, v1, v88
	s_delay_alu instid0(VALU_DEP_1) | instskip(NEXT) | instid1(SALU_CYCLE_1)
	s_or_b32 s4, vcc_lo, s0
	s_and_saveexec_b32 s0, s4
; %bb.57:                               ;   in Loop: Header=BB15_53 Depth=2
	v_dual_mov_b32 v63, s92 :: v_dual_mov_b32 v78, v0
	v_dual_mov_b32 v59, s103 :: v_dual_mov_b32 v88, v1
; %bb.58:                               ;   in Loop: Header=BB15_53 Depth=2
	s_or_b32 exec_lo, exec_lo, s0
.LBB15_59:                              ;   in Loop: Header=BB15_53 Depth=2
	s_delay_alu instid0(SALU_CYCLE_1) | instskip(NEXT) | instid1(SALU_CYCLE_1)
	s_or_b32 exec_lo, exec_lo, s3
	s_mov_b32 s0, exec_lo
.LBB15_60:                              ;   in Loop: Header=BB15_53 Depth=2
	s_or_b32 exec_lo, exec_lo, s2
	s_mov_b32 s2, -1
	s_or_not1_b32 s3, s0, exec_lo
.LBB15_61:                              ;   in Loop: Header=BB15_53 Depth=2
	s_or_b32 exec_lo, exec_lo, s89
	s_mov_b32 s0, s2
	s_and_saveexec_b32 s4, s3
	s_cbranch_execz .LBB15_52
; %bb.62:                               ;   in Loop: Header=BB15_53 Depth=2
	s_add_i32 s103, s103, 1
	v_add_co_u32 v75, s0, v75, 4
	v_cmp_eq_u32_e32 vcc_lo, s103, v79
	v_add_co_ci_u32_e64 v76, s0, 0, v76, s0
	s_add_i32 s102, s102, -1
	s_and_not1_b32 s0, s2, exec_lo
	s_or_not1_b32 s75, vcc_lo, exec_lo
	s_branch .LBB15_52
.LBB15_63:                              ;   in Loop: Header=BB15_4 Depth=1
	s_or_b32 exec_lo, exec_lo, s101
	s_delay_alu instid0(SALU_CYCLE_1)
	s_and_b32 s1, s91, exec_lo
	s_and_b32 s0, s72, exec_lo
	s_or_not1_b32 s2, s104, exec_lo
	s_movk_i32 s72, 0xe0
.LBB15_64:                              ;   in Loop: Header=BB15_4 Depth=1
	s_or_b32 exec_lo, exec_lo, s100
	s_mov_b32 s3, s98
	s_and_saveexec_b32 s4, s2
	s_cbranch_execz .LBB15_66
; %bb.65:                               ;   in Loop: Header=BB15_4 Depth=1
	global_load_b32 v0, v[40:41], off offset:20
	v_lshlrev_b32_e32 v1, 27, v89
	s_and_not1_b32 s1, s1, exec_lo
	s_and_not1_b32 s0, s0, exec_lo
	s_or_b32 s3, s98, exec_lo
	s_waitcnt vmcnt(0)
	v_and_or_b32 v0, 0x87ffffff, v0, v1
	global_store_b32 v[40:41], v0, off offset:20
.LBB15_66:                              ;   in Loop: Header=BB15_4 Depth=1
	s_or_b32 exec_lo, exec_lo, s4
	s_delay_alu instid0(SALU_CYCLE_1)
	s_and_not1_b32 s2, s66, exec_lo
	s_and_b32 s1, s1, exec_lo
	s_and_b32 s0, s0, exec_lo
	s_or_b32 s66, s2, s1
	s_and_not1_b32 s1, s65, exec_lo
	s_and_not1_b32 s2, s98, exec_lo
	s_and_b32 s3, s3, exec_lo
	s_or_b32 s65, s1, s0
	s_or_b32 s0, s2, s3
.LBB15_67:                              ;   in Loop: Header=BB15_4 Depth=1
	s_or_b32 exec_lo, exec_lo, s67
	s_delay_alu instid0(SALU_CYCLE_1)
	s_and_not1_b32 s2, s98, exec_lo
	s_and_b32 s3, s0, exec_lo
	s_and_b32 s1, s66, exec_lo
	;; [unrolled: 1-line block ×3, first 2 shown]
	s_or_b32 s98, s2, s3
.LBB15_68:                              ;   in Loop: Header=BB15_4 Depth=1
	s_or_b32 exec_lo, exec_lo, s99
	s_delay_alu instid0(SALU_CYCLE_1)
	s_and_b32 s3, s1, exec_lo
	s_and_b32 s2, s0, exec_lo
	s_or_not1_b32 s0, s98, exec_lo
.LBB15_69:                              ;   in Loop: Header=BB15_4 Depth=1
	s_or_b32 exec_lo, exec_lo, s97
	s_delay_alu instid0(SALU_CYCLE_1)
	s_and_not1_b32 s4, s96, exec_lo
	s_and_b32 s3, s3, exec_lo
	s_and_not1_b32 s5, s95, exec_lo
	s_and_b32 s2, s2, exec_lo
	s_mov_b32 s1, -1
	s_or_b32 s96, s4, s3
	s_or_b32 s95, s5, s2
	s_and_saveexec_b32 s2, s0
	s_cbranch_execz .LBB15_3
; %bb.70:                               ;   in Loop: Header=BB15_4 Depth=1
	s_add_i32 s92, s92, 1
	s_delay_alu instid0(SALU_CYCLE_1)
	s_cmp_eq_u32 s92, 8
	s_cselect_b32 s0, -1, 0
	s_and_not1_b32 s96, s96, exec_lo
	s_and_not1_b32 s95, s95, exec_lo
	s_or_not1_b32 s1, s0, exec_lo
	s_branch .LBB15_3
.LBB15_71:
	s_or_b32 exec_lo, exec_lo, s73
	s_xor_b32 s0, s94, -1
	s_xor_b32 s1, s93, -1
	s_mov_b32 s22, 0
	s_and_saveexec_b32 s2, s1
	v_readlane_b32 s23, v90, 0
	s_xor_b32 s21, exec_lo, s2
	s_cbranch_execnz .LBB15_79
; %bb.72:
	s_and_not1_saveexec_b32 s21, s21
	s_cbranch_execnz .LBB15_90
.LBB15_73:
	s_or_b32 exec_lo, exec_lo, s21
	s_and_saveexec_b32 s0, s22
.LBB15_74:
	; divergent unreachable
.LBB15_75:
	s_delay_alu instid0(SALU_CYCLE_1)
	s_or_b32 exec_lo, exec_lo, s0
                                        ; implicit-def: $vgpr62_vgpr63
.LBB15_76:
	s_and_not1_saveexec_b32 s0, s23
	s_cbranch_execz .LBB15_78
; %bb.77:
	v_mad_i64_i32 v[0:1], null, v62, 28, s[54:55]
	v_mov_b32_e32 v2, 0
	global_store_b8 v[0:1], v2, off offset:52
.LBB15_78:
	s_endpgm
.LBB15_79:
	s_and_saveexec_b32 s1, s0
	s_delay_alu instid0(SALU_CYCLE_1)
	s_xor_b32 s0, exec_lo, s1
	s_cbranch_execz .LBB15_87
; %bb.80:
	s_mov_b32 s1, exec_lo
	v_cmpx_ne_u32_e32 -1, v63
	s_xor_b32 s1, exec_lo, s1
	s_cbranch_execz .LBB15_84
; %bb.81:
	s_mov_b32 s3, exec_lo
	s_mov_b32 s2, exec_lo
	v_mbcnt_lo_u32_b32 v0, s3, 0
	s_delay_alu instid0(VALU_DEP_1)
	v_cmpx_eq_u32_e32 0, v0
	s_cbranch_execz .LBB15_83
; %bb.82:
	v_mov_b32_e32 v0, 0
	s_getpc_b64 s[4:5]
	s_add_u32 s4, s4, GPUexpected@rel32@lo+4
	s_addc_u32 s5, s5, GPUexpected@rel32@hi+12
	s_bcnt1_i32_b32 s3, s3
	s_delay_alu instid0(SALU_CYCLE_1)
	v_mov_b32_e32 v2, s3
	global_load_b64 v[0:1], v0, s[4:5]
	s_waitcnt vmcnt(0)
	global_atomic_add_u32 v[0:1], v2, off
.LBB15_83:
	s_or_b32 exec_lo, exec_lo, s2
	v_add_nc_u32_e32 v0, v63, v58
	v_mad_i64_i32 v[8:9], null, v62, 28, s[54:55]
	v_add_co_u32 v10, vcc_lo, s40, v72
	s_delay_alu instid0(VALU_DEP_3)
	v_mad_i64_i32 v[4:5], null, v0, 28, s[52:53]
	v_mov_b32_e32 v12, 1
	v_add_co_ci_u32_e32 v11, vcc_lo, s41, v73, vcc_lo
                                        ; implicit-def: $vgpr62_vgpr63
	s_clause 0x1
	global_load_b128 v[0:3], v[4:5], off offset:12
	global_load_b128 v[4:7], v[4:5], off
	s_waitcnt vmcnt(1)
	global_store_b128 v[8:9], v[0:3], off offset:40
	s_waitcnt vmcnt(0)
	s_clause 0x1
	global_store_b128 v[8:9], v[4:7], off offset:28
	global_store_b8 v[8:9], v12, off offset:52
	global_store_b32 v[10:11], v59, off offset:4
.LBB15_84:
	s_and_not1_saveexec_b32 s1, s1
	s_cbranch_execz .LBB15_86
; %bb.85:
	v_mad_i64_i32 v[0:1], null, v62, 28, s[54:55]
	v_mov_b32_e32 v2, 0
	global_store_b8 v[0:1], v2, off offset:52
.LBB15_86:
	s_or_b32 exec_lo, exec_lo, s1
.LBB15_87:
	s_or_saveexec_b32 s22, s0
	s_mov_b32 s0, 0
	s_xor_b32 exec_lo, exec_lo, s22
	s_cbranch_execz .LBB15_89
; %bb.88:
	s_add_u32 s8, s36, 0x70
	s_addc_u32 s9, s37, 0
	s_getpc_b64 s[0:1]
	s_add_u32 s0, s0, .str.2@rel32@lo+4
	s_addc_u32 s1, s1, .str.2@rel32@hi+12
	s_getpc_b64 s[2:3]
	s_add_u32 s2, s2, __PRETTY_FUNCTION__._Z16EvaluateNodeWaveiPiS_S_S_S_S_PN2rw3CutES2_S_PNS0_7LibraryEPNS0_9TableNodeEPKii@rel32@lo+4
	s_addc_u32 s3, s3, __PRETTY_FUNCTION__._Z16EvaluateNodeWaveiPiS_S_S_S_S_PN2rw3CutES2_S_PNS0_7LibraryEPNS0_9TableNodeEPKii@rel32@hi+12
	v_dual_mov_b32 v0, s0 :: v_dual_mov_b32 v1, s1
	v_dual_mov_b32 v2, 0x405 :: v_dual_mov_b32 v3, s2
	v_mov_b32_e32 v4, s3
	s_getpc_b64 s[4:5]
	s_add_u32 s4, s4, __assert_fail@rel32@lo+4
	s_addc_u32 s5, s5, __assert_fail@rel32@hi+12
	s_delay_alu instid0(SALU_CYCLE_1)
	s_swappc_b64 s[30:31], s[4:5]
	s_mov_b32 s0, exec_lo
.LBB15_89:
	s_or_b32 exec_lo, exec_lo, s22
	s_delay_alu instid0(SALU_CYCLE_1)
	s_and_b32 s22, s0, exec_lo
	s_and_not1_saveexec_b32 s21, s21
	s_cbranch_execz .LBB15_73
.LBB15_90:
	s_add_u32 s8, s36, 0x70
	s_addc_u32 s9, s37, 0
	s_getpc_b64 s[0:1]
	s_add_u32 s0, s0, .str@rel32@lo+4
	s_addc_u32 s1, s1, .str@rel32@hi+12
	s_getpc_b64 s[2:3]
	s_add_u32 s2, s2, __PRETTY_FUNCTION__._Z16EvaluateNodeWaveiPiS_S_S_S_S_PN2rw3CutES2_S_PNS0_7LibraryEPNS0_9TableNodeEPKii@rel32@lo+4
	s_addc_u32 s3, s3, __PRETTY_FUNCTION__._Z16EvaluateNodeWaveiPiS_S_S_S_S_PN2rw3CutES2_S_PNS0_7LibraryEPNS0_9TableNodeEPKii@rel32@hi+12
	v_dual_mov_b32 v0, s0 :: v_dual_mov_b32 v1, s1
	v_dual_mov_b32 v2, 0x3f6 :: v_dual_mov_b32 v3, s2
	v_mov_b32_e32 v4, s3
	s_getpc_b64 s[4:5]
	s_add_u32 s4, s4, __assert_fail@rel32@lo+4
	s_addc_u32 s5, s5, __assert_fail@rel32@hi+12
	s_delay_alu instid0(SALU_CYCLE_1)
	s_swappc_b64 s[30:31], s[4:5]
	s_or_b32 s22, s22, exec_lo
	s_or_b32 exec_lo, exec_lo, s21
	s_and_saveexec_b32 s0, s22
	s_cbranch_execnz .LBB15_74
	s_branch .LBB15_75
	.section	.rodata,"a",@progbits
	.p2align	6, 0x0
	.amdhsa_kernel _Z16EvaluateNodeWaveiPiS_S_S_S_S_PN2rw3CutES2_S_PNS0_7LibraryEPNS0_9TableNodeEPKii
		.amdhsa_group_segment_fixed_size 36864
		.amdhsa_private_segment_fixed_size 592
		.amdhsa_kernarg_size 368
		.amdhsa_user_sgpr_count 15
		.amdhsa_user_sgpr_dispatch_ptr 1
		.amdhsa_user_sgpr_queue_ptr 0
		.amdhsa_user_sgpr_kernarg_segment_ptr 1
		.amdhsa_user_sgpr_dispatch_id 0
		.amdhsa_user_sgpr_private_segment_size 0
		.amdhsa_wavefront_size32 1
		.amdhsa_uses_dynamic_stack 1
		.amdhsa_enable_private_segment 1
		.amdhsa_system_sgpr_workgroup_id_x 1
		.amdhsa_system_sgpr_workgroup_id_y 0
		.amdhsa_system_sgpr_workgroup_id_z 0
		.amdhsa_system_sgpr_workgroup_info 0
		.amdhsa_system_vgpr_workitem_id 2
		.amdhsa_next_free_vgpr 91
		.amdhsa_next_free_sgpr 105
		.amdhsa_reserve_vcc 1
		.amdhsa_float_round_mode_32 0
		.amdhsa_float_round_mode_16_64 0
		.amdhsa_float_denorm_mode_32 3
		.amdhsa_float_denorm_mode_16_64 3
		.amdhsa_dx10_clamp 1
		.amdhsa_ieee_mode 1
		.amdhsa_fp16_overflow 0
		.amdhsa_workgroup_processor_mode 1
		.amdhsa_memory_ordered 1
		.amdhsa_forward_progress 0
		.amdhsa_shared_vgpr_count 0
		.amdhsa_exception_fp_ieee_invalid_op 0
		.amdhsa_exception_fp_denorm_src 0
		.amdhsa_exception_fp_ieee_div_zero 0
		.amdhsa_exception_fp_ieee_overflow 0
		.amdhsa_exception_fp_ieee_underflow 0
		.amdhsa_exception_fp_ieee_inexact 0
		.amdhsa_exception_int_div_zero 0
	.end_amdhsa_kernel
	.text
.Lfunc_end15:
	.size	_Z16EvaluateNodeWaveiPiS_S_S_S_S_PN2rw3CutES2_S_PNS0_7LibraryEPNS0_9TableNodeEPKii, .Lfunc_end15-_Z16EvaluateNodeWaveiPiS_S_S_S_S_PN2rw3CutES2_S_PNS0_7LibraryEPNS0_9TableNodeEPKii
                                        ; -- End function
	.section	.AMDGPU.csdata,"",@progbits
; Kernel info:
; codeLenInByte = 5316
; NumSgprs: 107
; NumVgprs: 91
; ScratchSize: 592
; MemoryBound: 0
; FloatMode: 240
; IeeeMode: 1
; LDSByteSize: 36864 bytes/workgroup (compile time only)
; SGPRBlocks: 13
; VGPRBlocks: 11
; NumSGPRsForWavesPerEU: 107
; NumVGPRsForWavesPerEU: 91
; Occupancy: 16
; WaveLimiterHint : 1
; COMPUTE_PGM_RSRC2:SCRATCH_EN: 1
; COMPUTE_PGM_RSRC2:USER_SGPR: 15
; COMPUTE_PGM_RSRC2:TRAP_HANDLER: 0
; COMPUTE_PGM_RSRC2:TGID_X_EN: 1
; COMPUTE_PGM_RSRC2:TGID_Y_EN: 0
; COMPUTE_PGM_RSRC2:TGID_Z_EN: 0
; COMPUTE_PGM_RSRC2:TIDIG_COMP_CNT: 2
	.text
	.p2alignl 7, 3214868480
	.fill 96, 4, 3214868480
	.type	__const.__assert_fail.fmt,@object ; @__const.__assert_fail.fmt
	.section	.rodata.str1.16,"aMS",@progbits,1
	.p2align	4, 0x0
__const.__assert_fail.fmt:
	.asciz	"%s:%u: %s: Device-side assertion `%s' failed.\n"
	.size	__const.__assert_fail.fmt, 47

	.protected	P.managed               ; @P.managed
	.type	P.managed,@object
	.section	.bss,"aw",@nobits
	.globl	P.managed
	.p2align	2, 0x0
P.managed:
	.long	0                               ; 0x0
	.size	P.managed, 4

	.protected	N.managed               ; @N.managed
	.type	N.managed,@object
	.globl	N.managed
	.p2align	2, 0x0
N.managed:
	.long	0                               ; 0x0
	.size	N.managed, 4

	.protected	GPUexpected.managed     ; @GPUexpected.managed
	.type	GPUexpected.managed,@object
	.globl	GPUexpected.managed
	.p2align	2, 0x0
GPUexpected.managed:
	.long	0                               ; 0x0
	.size	GPUexpected.managed, 4

	.protected	replaceHasFullCorrsp.managed ; @replaceHasFullCorrsp.managed
	.type	replaceHasFullCorrsp.managed,@object
	.globl	replaceHasFullCorrsp.managed
	.p2align	2, 0x0
replaceHasFullCorrsp.managed:
	.long	0                               ; 0x0
	.size	replaceHasFullCorrsp.managed, 4

	.type	__const._Z18MinimizeCutSupportPN2rw3CutE.masks,@object ; @__const._Z18MinimizeCutSupportPN2rw3CutE.masks
	.section	.rodata.cst32,"aM",@progbits,32
	.p2align	4, 0x0
__const._Z18MinimizeCutSupportPN2rw3CutE.masks:
	.long	21845                           ; 0x5555
	.long	43690                           ; 0xaaaa
	;; [unrolled: 1-line block ×4, first 2 shown]
	.long	3855                            ; 0xf0f
	.long	61680                           ; 0xf0f0
	.long	255                             ; 0xff
	.long	65280                           ; 0xff00
	.size	__const._Z18MinimizeCutSupportPN2rw3CutE.masks, 32

	.type	.str,@object                    ; @.str
	.section	.rodata.str1.1,"aMS",@progbits,1
.str:
	.asciz	"matchLevel[in0] != -1 && matchLevel[in1] != -1"
	.size	.str, 47

	.type	.str.1,@object                  ; @.str.1
.str.1:
	.asciz	"/root/src/amdgpu-assembly/repos/zjin-lcf__HeCBench/src/logic-rewrite-hip/rewrite.cu"
	.size	.str.1, 84

	.type	__PRETTY_FUNCTION__._Z12EvaluateNodeiPiS_S_S_S_S_PN2rw3CutES2_S_PNS0_7LibraryEPNS0_9TableNodeEi,@object ; @__PRETTY_FUNCTION__._Z12EvaluateNodeiPiS_S_S_S_S_PN2rw3CutES2_S_PNS0_7LibraryEPNS0_9TableNodeEi
__PRETTY_FUNCTION__._Z12EvaluateNodeiPiS_S_S_S_S_PN2rw3CutES2_S_PNS0_7LibraryEPNS0_9TableNodeEi:
	.asciz	"void EvaluateNode(int, int *, int *, int *, int *, int *, int *, Cut *, Cut *, int *, Library *, TableNode *, int)"
	.size	__PRETTY_FUNCTION__._Z12EvaluateNodeiPiS_S_S_S_S_PN2rw3CutES2_S_PNS0_7LibraryEPNS0_9TableNodeEi, 115

	.type	.str.2,@object                  ; @.str.2
.str.2:
	.asciz	"rtLevel != -1"
	.size	.str.2, 14

	.type	.str.3,@object                  ; @.str.3
.str.3:
	.asciz	"cut#%d details: truthtable %d, used%d, nLeaves=%d, leaves=%d %d %d %d\n"
	.size	.str.3, 71

	.type	.str.4,@object                  ; @.str.4
.str.4:
	.asciz	"Selected %d: %d %d\n"
	.size	.str.4, 20

	.type	__PRETTY_FUNCTION__._Z16EvaluateNodeWaveiPiS_S_S_S_S_PN2rw3CutES2_S_PNS0_7LibraryEPNS0_9TableNodeEPKii,@object ; @__PRETTY_FUNCTION__._Z16EvaluateNodeWaveiPiS_S_S_S_S_PN2rw3CutES2_S_PNS0_7LibraryEPNS0_9TableNodeEPKii
__PRETTY_FUNCTION__._Z16EvaluateNodeWaveiPiS_S_S_S_S_PN2rw3CutES2_S_PNS0_7LibraryEPNS0_9TableNodeEPKii:
	.asciz	"void EvaluateNodeWave(int, int *, int *, int *, int *, int *, int *, Cut *, Cut *, int *, Library *, TableNode *, const int *, int)"
	.size	__PRETTY_FUNCTION__._Z16EvaluateNodeWaveiPiS_S_S_S_S_PN2rw3CutES2_S_PNS0_7LibraryEPNS0_9TableNodeEPKii, 132

	.protected	P                       ; @P
	.type	P,@object
	.section	.bss,"aw",@nobits
	.globl	P
	.p2align	3, 0x0
P:
	.quad	0
	.size	P, 8

	.protected	N                       ; @N
	.type	N,@object
	.globl	N
	.p2align	3, 0x0
N:
	.quad	0
	.size	N, 8

	.protected	GPUexpected             ; @GPUexpected
	.type	GPUexpected,@object
	.globl	GPUexpected
	.p2align	3, 0x0
GPUexpected:
	.quad	0
	.size	GPUexpected, 8

	.protected	replaceHasFullCorrsp    ; @replaceHasFullCorrsp
	.type	replaceHasFullCorrsp,@object
	.globl	replaceHasFullCorrsp
	.p2align	3, 0x0
replaceHasFullCorrsp:
	.quad	0
	.size	replaceHasFullCorrsp, 8

	.type	__hip_cuid_e6e1290ad4750f66,@object ; @__hip_cuid_e6e1290ad4750f66
	.globl	__hip_cuid_e6e1290ad4750f66
__hip_cuid_e6e1290ad4750f66:
	.byte	0                               ; 0x0
	.size	__hip_cuid_e6e1290ad4750f66, 1

	.ident	"AMD clang version 19.0.0git (https://github.com/RadeonOpenCompute/llvm-project roc-6.4.0 25133 c7fe45cf4b819c5991fe208aaa96edf142730f1d)"
	.section	".note.GNU-stack","",@progbits
	.addrsig
	.addrsig_sym P.managed
	.addrsig_sym N.managed
	.addrsig_sym GPUexpected.managed
	.addrsig_sym replaceHasFullCorrsp.managed
	.addrsig_sym P
	.addrsig_sym N
	.addrsig_sym GPUexpected
	.addrsig_sym replaceHasFullCorrsp
	.addrsig_sym __hip_cuid_e6e1290ad4750f66
	.amdgpu_metadata
---
amdhsa.kernels:
  - .args:
      - .address_space:  global
        .offset:         0
        .size:           8
        .value_kind:     global_buffer
      - .address_space:  global
        .offset:         8
        .size:           8
        .value_kind:     global_buffer
      - .offset:         16
        .size:           4
        .value_kind:     by_value
      - .offset:         24
        .size:           4
        .value_kind:     hidden_block_count_x
      - .offset:         28
        .size:           4
        .value_kind:     hidden_block_count_y
      - .offset:         32
        .size:           4
        .value_kind:     hidden_block_count_z
      - .offset:         36
        .size:           2
        .value_kind:     hidden_group_size_x
      - .offset:         38
        .size:           2
        .value_kind:     hidden_group_size_y
      - .offset:         40
        .size:           2
        .value_kind:     hidden_group_size_z
      - .offset:         42
        .size:           2
        .value_kind:     hidden_remainder_x
      - .offset:         44
        .size:           2
        .value_kind:     hidden_remainder_y
      - .offset:         46
        .size:           2
        .value_kind:     hidden_remainder_z
      - .offset:         64
        .size:           8
        .value_kind:     hidden_global_offset_x
      - .offset:         72
        .size:           8
        .value_kind:     hidden_global_offset_y
      - .offset:         80
        .size:           8
        .value_kind:     hidden_global_offset_z
      - .offset:         88
        .size:           2
        .value_kind:     hidden_grid_dims
    .group_segment_fixed_size: 0
    .kernarg_segment_align: 8
    .kernarg_segment_size: 280
    .language:       OpenCL C
    .language_version:
      - 2
      - 0
    .max_flat_workgroup_size: 1024
    .name:           _Z6InputsPiPN2rw3CutEi
    .private_segment_fixed_size: 0
    .sgpr_count:     16
    .sgpr_spill_count: 0
    .symbol:         _Z6InputsPiPN2rw3CutEi.kd
    .uniform_work_group_size: 1
    .uses_dynamic_stack: false
    .vgpr_count:     6
    .vgpr_spill_count: 0
    .wavefront_size: 32
    .workgroup_processor_mode: 1
  - .args:
      - .address_space:  global
        .offset:         0
        .size:           8
        .value_kind:     global_buffer
      - .address_space:  global
        .offset:         8
        .size:           8
        .value_kind:     global_buffer
      - .address_space:  global
        .offset:         16
        .size:           8
        .value_kind:     global_buffer
      - .address_space:  global
        .offset:         24
        .size:           8
        .value_kind:     global_buffer
      - .address_space:  global
        .offset:         32
        .size:           8
        .value_kind:     global_buffer
      - .address_space:  global
        .offset:         40
        .size:           8
        .value_kind:     global_buffer
      - .offset:         48
        .size:           4
        .value_kind:     by_value
      - .offset:         52
        .size:           4
        .value_kind:     by_value
      - .offset:         56
        .size:           4
        .value_kind:     hidden_block_count_x
      - .offset:         60
        .size:           4
        .value_kind:     hidden_block_count_y
      - .offset:         64
        .size:           4
        .value_kind:     hidden_block_count_z
      - .offset:         68
        .size:           2
        .value_kind:     hidden_group_size_x
      - .offset:         70
        .size:           2
        .value_kind:     hidden_group_size_y
      - .offset:         72
        .size:           2
        .value_kind:     hidden_group_size_z
      - .offset:         74
        .size:           2
        .value_kind:     hidden_remainder_x
      - .offset:         76
        .size:           2
        .value_kind:     hidden_remainder_y
      - .offset:         78
        .size:           2
        .value_kind:     hidden_remainder_z
      - .offset:         96
        .size:           8
        .value_kind:     hidden_global_offset_x
      - .offset:         104
        .size:           8
        .value_kind:     hidden_global_offset_y
      - .offset:         112
        .size:           8
        .value_kind:     hidden_global_offset_z
      - .offset:         120
        .size:           2
        .value_kind:     hidden_grid_dims
    .group_segment_fixed_size: 60416
    .kernarg_segment_align: 8
    .kernarg_segment_size: 312
    .language:       OpenCL C
    .language_version:
      - 2
      - 0
    .max_flat_workgroup_size: 1024
    .name:           _Z12CutEnumeratePiS_S_S_S_PN2rw3CutEii
    .private_segment_fixed_size: 116
    .sgpr_count:     43
    .sgpr_spill_count: 0
    .symbol:         _Z12CutEnumeratePiS_S_S_S_PN2rw3CutEii.kd
    .uniform_work_group_size: 1
    .uses_dynamic_stack: false
    .vgpr_count:     67
    .vgpr_spill_count: 0
    .wavefront_size: 32
    .workgroup_processor_mode: 1
  - .args:
      - .offset:         0
        .size:           4
        .value_kind:     by_value
      - .address_space:  global
        .offset:         8
        .size:           8
        .value_kind:     global_buffer
      - .address_space:  global
        .offset:         16
        .size:           8
        .value_kind:     global_buffer
      - .address_space:  global
        .offset:         24
        .size:           8
        .value_kind:     global_buffer
      - .address_space:  global
        .offset:         32
        .size:           8
        .value_kind:     global_buffer
      - .address_space:  global
        .offset:         40
        .size:           8
        .value_kind:     global_buffer
      - .address_space:  global
        .offset:         48
        .size:           8
        .value_kind:     global_buffer
      - .address_space:  global
        .offset:         56
        .size:           8
        .value_kind:     global_buffer
      - .address_space:  global
        .offset:         64
        .size:           8
        .value_kind:     global_buffer
      - .address_space:  global
        .offset:         72
        .size:           8
        .value_kind:     global_buffer
      - .address_space:  global
        .offset:         80
        .size:           8
        .value_kind:     global_buffer
      - .address_space:  global
        .offset:         88
        .size:           8
        .value_kind:     global_buffer
      - .offset:         96
        .size:           4
        .value_kind:     by_value
      - .offset:         104
        .size:           4
        .value_kind:     hidden_block_count_x
      - .offset:         108
        .size:           4
        .value_kind:     hidden_block_count_y
      - .offset:         112
        .size:           4
        .value_kind:     hidden_block_count_z
      - .offset:         116
        .size:           2
        .value_kind:     hidden_group_size_x
      - .offset:         118
        .size:           2
        .value_kind:     hidden_group_size_y
      - .offset:         120
        .size:           2
        .value_kind:     hidden_group_size_z
      - .offset:         122
        .size:           2
        .value_kind:     hidden_remainder_x
      - .offset:         124
        .size:           2
        .value_kind:     hidden_remainder_y
      - .offset:         126
        .size:           2
        .value_kind:     hidden_remainder_z
      - .offset:         144
        .size:           8
        .value_kind:     hidden_global_offset_x
      - .offset:         152
        .size:           8
        .value_kind:     hidden_global_offset_y
      - .offset:         160
        .size:           8
        .value_kind:     hidden_global_offset_z
      - .offset:         168
        .size:           2
        .value_kind:     hidden_grid_dims
      - .offset:         184
        .size:           8
        .value_kind:     hidden_hostcall_buffer
    .group_segment_fixed_size: 36864
    .kernarg_segment_align: 8
    .kernarg_segment_size: 360
    .language:       OpenCL C
    .language_version:
      - 2
      - 0
    .max_flat_workgroup_size: 1024
    .name:           _Z12EvaluateNodeiPiS_S_S_S_S_PN2rw3CutES2_S_PNS0_7LibraryEPNS0_9TableNodeEi
    .private_segment_fixed_size: 592
    .sgpr_count:     107
    .sgpr_spill_count: 2
    .symbol:         _Z12EvaluateNodeiPiS_S_S_S_S_PN2rw3CutES2_S_PNS0_7LibraryEPNS0_9TableNodeEi.kd
    .uniform_work_group_size: 1
    .uses_dynamic_stack: true
    .vgpr_count:     89
    .vgpr_spill_count: 0
    .wavefront_size: 32
    .workgroup_processor_mode: 1
  - .args:
      - .address_space:  global
        .offset:         0
        .size:           8
        .value_kind:     global_buffer
      - .offset:         8
        .size:           4
        .value_kind:     by_value
      - .address_space:  global
        .offset:         16
        .size:           8
        .value_kind:     global_buffer
      - .address_space:  global
        .offset:         24
        .size:           8
        .value_kind:     global_buffer
      - .address_space:  global
        .offset:         32
        .size:           8
        .value_kind:     global_buffer
      - .address_space:  global
        .offset:         40
        .size:           8
        .value_kind:     global_buffer
      - .offset:         48
        .size:           4
        .value_kind:     hidden_block_count_x
      - .offset:         52
        .size:           4
        .value_kind:     hidden_block_count_y
      - .offset:         56
        .size:           4
        .value_kind:     hidden_block_count_z
      - .offset:         60
        .size:           2
        .value_kind:     hidden_group_size_x
      - .offset:         62
        .size:           2
        .value_kind:     hidden_group_size_y
      - .offset:         64
        .size:           2
        .value_kind:     hidden_group_size_z
      - .offset:         66
        .size:           2
        .value_kind:     hidden_remainder_x
      - .offset:         68
        .size:           2
        .value_kind:     hidden_remainder_y
      - .offset:         70
        .size:           2
        .value_kind:     hidden_remainder_z
      - .offset:         88
        .size:           8
        .value_kind:     hidden_global_offset_x
      - .offset:         96
        .size:           8
        .value_kind:     hidden_global_offset_y
      - .offset:         104
        .size:           8
        .value_kind:     hidden_global_offset_z
      - .offset:         112
        .size:           2
        .value_kind:     hidden_grid_dims
    .group_segment_fixed_size: 0
    .kernarg_segment_align: 8
    .kernarg_segment_size: 304
    .language:       OpenCL C
    .language_version:
      - 2
      - 0
    .max_flat_workgroup_size: 1024
    .name:           _Z14BuildHashTablePN2rw9TableNodeEiPiS2_S2_S2_
    .private_segment_fixed_size: 0
    .sgpr_count:     18
    .sgpr_spill_count: 0
    .symbol:         _Z14BuildHashTablePN2rw9TableNodeEiPiS2_S2_S2_.kd
    .uniform_work_group_size: 1
    .uses_dynamic_stack: false
    .vgpr_count:     12
    .vgpr_spill_count: 0
    .wavefront_size: 32
    .workgroup_processor_mode: 1
  - .args:
      - .offset:         0
        .size:           4
        .value_kind:     by_value
      - .address_space:  global
        .offset:         8
        .size:           8
        .value_kind:     global_buffer
      - .address_space:  global
        .offset:         16
        .size:           8
        .value_kind:     global_buffer
      - .address_space:  global
        .offset:         24
        .size:           8
        .value_kind:     global_buffer
      - .address_space:  global
        .offset:         32
        .size:           8
        .value_kind:     global_buffer
      - .address_space:  global
        .offset:         40
        .size:           8
        .value_kind:     global_buffer
      - .address_space:  global
        .offset:         48
        .size:           8
        .value_kind:     global_buffer
      - .address_space:  global
        .offset:         56
        .size:           8
        .value_kind:     global_buffer
      - .address_space:  global
        .offset:         64
        .size:           8
        .value_kind:     global_buffer
      - .address_space:  global
        .offset:         72
        .size:           8
        .value_kind:     global_buffer
      - .address_space:  global
        .offset:         80
        .size:           8
        .value_kind:     global_buffer
      - .address_space:  global
        .offset:         88
        .size:           8
        .value_kind:     global_buffer
      - .offset:         96
        .size:           4
        .value_kind:     hidden_block_count_x
      - .offset:         100
        .size:           4
        .value_kind:     hidden_block_count_y
      - .offset:         104
        .size:           4
        .value_kind:     hidden_block_count_z
      - .offset:         108
        .size:           2
        .value_kind:     hidden_group_size_x
      - .offset:         110
        .size:           2
        .value_kind:     hidden_group_size_y
      - .offset:         112
        .size:           2
        .value_kind:     hidden_group_size_z
      - .offset:         114
        .size:           2
        .value_kind:     hidden_remainder_x
      - .offset:         116
        .size:           2
        .value_kind:     hidden_remainder_y
      - .offset:         118
        .size:           2
        .value_kind:     hidden_remainder_z
      - .offset:         136
        .size:           8
        .value_kind:     hidden_global_offset_x
      - .offset:         144
        .size:           8
        .value_kind:     hidden_global_offset_y
      - .offset:         152
        .size:           8
        .value_kind:     hidden_global_offset_z
      - .offset:         160
        .size:           2
        .value_kind:     hidden_grid_dims
    .group_segment_fixed_size: 28672
    .kernarg_segment_align: 8
    .kernarg_segment_size: 352
    .language:       OpenCL C
    .language_version:
      - 2
      - 0
    .max_flat_workgroup_size: 1024
    .name:           _Z12ReplaceSubgriPiS_S_S_S_PN2rw3CutEPNS0_7LibraryEPNS0_9TableNodeES6_S_S_
    .private_segment_fixed_size: 336
    .sgpr_count:     46
    .sgpr_spill_count: 0
    .symbol:         _Z12ReplaceSubgriPiS_S_S_S_PN2rw3CutEPNS0_7LibraryEPNS0_9TableNodeES6_S_S_.kd
    .uniform_work_group_size: 1
    .uses_dynamic_stack: true
    .vgpr_count:     91
    .vgpr_spill_count: 0
    .wavefront_size: 32
    .workgroup_processor_mode: 1
  - .args:
      - .offset:         0
        .size:           4
        .value_kind:     by_value
      - .address_space:  global
        .offset:         8
        .size:           8
        .value_kind:     global_buffer
      - .address_space:  global
        .offset:         16
        .size:           8
        .value_kind:     global_buffer
      - .address_space:  global
        .offset:         24
        .size:           8
        .value_kind:     global_buffer
      - .offset:         32
        .size:           4
        .value_kind:     hidden_block_count_x
      - .offset:         36
        .size:           4
        .value_kind:     hidden_block_count_y
      - .offset:         40
        .size:           4
        .value_kind:     hidden_block_count_z
      - .offset:         44
        .size:           2
        .value_kind:     hidden_group_size_x
      - .offset:         46
        .size:           2
        .value_kind:     hidden_group_size_y
      - .offset:         48
        .size:           2
        .value_kind:     hidden_group_size_z
      - .offset:         50
        .size:           2
        .value_kind:     hidden_remainder_x
      - .offset:         52
        .size:           2
        .value_kind:     hidden_remainder_y
      - .offset:         54
        .size:           2
        .value_kind:     hidden_remainder_z
      - .offset:         72
        .size:           8
        .value_kind:     hidden_global_offset_x
      - .offset:         80
        .size:           8
        .value_kind:     hidden_global_offset_y
      - .offset:         88
        .size:           8
        .value_kind:     hidden_global_offset_z
      - .offset:         96
        .size:           2
        .value_kind:     hidden_grid_dims
    .group_segment_fixed_size: 0
    .kernarg_segment_align: 8
    .kernarg_segment_size: 288
    .language:       OpenCL C
    .language_version:
      - 2
      - 0
    .max_flat_workgroup_size: 1024
    .name:           _Z15DetachAndAttachiPiS_S_
    .private_segment_fixed_size: 0
    .sgpr_count:     18
    .sgpr_spill_count: 0
    .symbol:         _Z15DetachAndAttachiPiS_S_.kd
    .uniform_work_group_size: 1
    .uses_dynamic_stack: false
    .vgpr_count:     7
    .vgpr_spill_count: 0
    .wavefront_size: 32
    .workgroup_processor_mode: 1
  - .args:
      - .offset:         0
        .size:           4
        .value_kind:     by_value
      - .address_space:  global
        .offset:         8
        .size:           8
        .value_kind:     global_buffer
      - .offset:         16
        .size:           4
        .value_kind:     hidden_block_count_x
      - .offset:         20
        .size:           4
        .value_kind:     hidden_block_count_y
      - .offset:         24
        .size:           4
        .value_kind:     hidden_block_count_z
      - .offset:         28
        .size:           2
        .value_kind:     hidden_group_size_x
      - .offset:         30
        .size:           2
        .value_kind:     hidden_group_size_y
      - .offset:         32
        .size:           2
        .value_kind:     hidden_group_size_z
      - .offset:         34
        .size:           2
        .value_kind:     hidden_remainder_x
      - .offset:         36
        .size:           2
        .value_kind:     hidden_remainder_y
      - .offset:         38
        .size:           2
        .value_kind:     hidden_remainder_z
      - .offset:         56
        .size:           8
        .value_kind:     hidden_global_offset_x
      - .offset:         64
        .size:           8
        .value_kind:     hidden_global_offset_y
      - .offset:         72
        .size:           8
        .value_kind:     hidden_global_offset_z
      - .offset:         80
        .size:           2
        .value_kind:     hidden_grid_dims
      - .offset:         96
        .size:           8
        .value_kind:     hidden_hostcall_buffer
    .group_segment_fixed_size: 0
    .kernarg_segment_align: 8
    .kernarg_segment_size: 272
    .language:       OpenCL C
    .language_version:
      - 2
      - 0
    .max_flat_workgroup_size: 1024
    .name:           _Z9printCutsiPN2rw3CutE
    .private_segment_fixed_size: 0
    .sgpr_count:     30
    .sgpr_spill_count: 0
    .symbol:         _Z9printCutsiPN2rw3CutE.kd
    .uniform_work_group_size: 1
    .uses_dynamic_stack: false
    .vgpr_count:     47
    .vgpr_spill_count: 0
    .wavefront_size: 32
    .workgroup_processor_mode: 1
  - .args:
      - .address_space:  global
        .offset:         0
        .size:           8
        .value_kind:     global_buffer
      - .address_space:  global
        .offset:         8
        .size:           8
        .value_kind:     global_buffer
      - .offset:         16
        .size:           4
        .value_kind:     by_value
      - .offset:         24
        .size:           4
        .value_kind:     hidden_block_count_x
      - .offset:         28
        .size:           4
        .value_kind:     hidden_block_count_y
      - .offset:         32
        .size:           4
        .value_kind:     hidden_block_count_z
      - .offset:         36
        .size:           2
        .value_kind:     hidden_group_size_x
      - .offset:         38
        .size:           2
        .value_kind:     hidden_group_size_y
      - .offset:         40
        .size:           2
        .value_kind:     hidden_group_size_z
      - .offset:         42
        .size:           2
        .value_kind:     hidden_remainder_x
      - .offset:         44
        .size:           2
        .value_kind:     hidden_remainder_y
      - .offset:         46
        .size:           2
        .value_kind:     hidden_remainder_z
      - .offset:         64
        .size:           8
        .value_kind:     hidden_global_offset_x
      - .offset:         72
        .size:           8
        .value_kind:     hidden_global_offset_y
      - .offset:         80
        .size:           8
        .value_kind:     hidden_global_offset_z
      - .offset:         88
        .size:           2
        .value_kind:     hidden_grid_dims
    .group_segment_fixed_size: 0
    .kernarg_segment_align: 8
    .kernarg_segment_size: 280
    .language:       OpenCL C
    .language_version:
      - 2
      - 0
    .max_flat_workgroup_size: 1024
    .name:           _Z7ConvertPiS_i
    .private_segment_fixed_size: 0
    .sgpr_count:     18
    .sgpr_spill_count: 0
    .symbol:         _Z7ConvertPiS_i.kd
    .uniform_work_group_size: 1
    .uses_dynamic_stack: false
    .vgpr_count:     5
    .vgpr_spill_count: 0
    .wavefront_size: 32
    .workgroup_processor_mode: 1
  - .args:
      - .address_space:  global
        .offset:         0
        .size:           8
        .value_kind:     global_buffer
      - .address_space:  global
        .offset:         8
        .size:           8
        .value_kind:     global_buffer
      - .offset:         16
        .size:           4
        .value_kind:     by_value
      - .offset:         24
        .size:           4
        .value_kind:     hidden_block_count_x
      - .offset:         28
        .size:           4
        .value_kind:     hidden_block_count_y
      - .offset:         32
        .size:           4
        .value_kind:     hidden_block_count_z
      - .offset:         36
        .size:           2
        .value_kind:     hidden_group_size_x
      - .offset:         38
        .size:           2
        .value_kind:     hidden_group_size_y
      - .offset:         40
        .size:           2
        .value_kind:     hidden_group_size_z
      - .offset:         42
        .size:           2
        .value_kind:     hidden_remainder_x
      - .offset:         44
        .size:           2
        .value_kind:     hidden_remainder_y
      - .offset:         46
        .size:           2
        .value_kind:     hidden_remainder_z
      - .offset:         64
        .size:           8
        .value_kind:     hidden_global_offset_x
      - .offset:         72
        .size:           8
        .value_kind:     hidden_global_offset_y
      - .offset:         80
        .size:           8
        .value_kind:     hidden_global_offset_z
      - .offset:         88
        .size:           2
        .value_kind:     hidden_grid_dims
    .group_segment_fixed_size: 0
    .kernarg_segment_align: 8
    .kernarg_segment_size: 280
    .language:       OpenCL C
    .language_version:
      - 2
      - 0
    .max_flat_workgroup_size: 1024
    .name:           _Z6RevertPiS_i
    .private_segment_fixed_size: 0
    .sgpr_count:     18
    .sgpr_spill_count: 0
    .symbol:         _Z6RevertPiS_i.kd
    .uniform_work_group_size: 1
    .uses_dynamic_stack: false
    .vgpr_count:     5
    .vgpr_spill_count: 0
    .wavefront_size: 32
    .workgroup_processor_mode: 1
  - .args:
      - .offset:         0
        .size:           4
        .value_kind:     by_value
      - .address_space:  global
        .offset:         8
        .size:           8
        .value_kind:     global_buffer
      - .address_space:  global
        .offset:         16
        .size:           8
        .value_kind:     global_buffer
      - .offset:         24
        .size:           4
        .value_kind:     hidden_block_count_x
      - .offset:         28
        .size:           4
        .value_kind:     hidden_block_count_y
      - .offset:         32
        .size:           4
        .value_kind:     hidden_block_count_z
      - .offset:         36
        .size:           2
        .value_kind:     hidden_group_size_x
      - .offset:         38
        .size:           2
        .value_kind:     hidden_group_size_y
      - .offset:         40
        .size:           2
        .value_kind:     hidden_group_size_z
      - .offset:         42
        .size:           2
        .value_kind:     hidden_remainder_x
      - .offset:         44
        .size:           2
        .value_kind:     hidden_remainder_y
      - .offset:         46
        .size:           2
        .value_kind:     hidden_remainder_z
      - .offset:         64
        .size:           8
        .value_kind:     hidden_global_offset_x
      - .offset:         72
        .size:           8
        .value_kind:     hidden_global_offset_y
      - .offset:         80
        .size:           8
        .value_kind:     hidden_global_offset_z
      - .offset:         88
        .size:           2
        .value_kind:     hidden_grid_dims
      - .offset:         104
        .size:           8
        .value_kind:     hidden_hostcall_buffer
    .group_segment_fixed_size: 0
    .kernarg_segment_align: 8
    .kernarg_segment_size: 280
    .language:       OpenCL C
    .language_version:
      - 2
      - 0
    .max_flat_workgroup_size: 1024
    .name:           _Z5printiPN2rw3CutEPi
    .private_segment_fixed_size: 0
    .sgpr_count:     28
    .sgpr_spill_count: 0
    .symbol:         _Z5printiPN2rw3CutEPi.kd
    .uniform_work_group_size: 1
    .uses_dynamic_stack: false
    .vgpr_count:     36
    .vgpr_spill_count: 0
    .wavefront_size: 32
    .workgroup_processor_mode: 1
  - .args:
      - .offset:         0
        .size:           4
        .value_kind:     by_value
      - .address_space:  global
        .offset:         8
        .size:           8
        .value_kind:     global_buffer
      - .address_space:  global
        .offset:         16
        .size:           8
        .value_kind:     global_buffer
      - .address_space:  global
        .offset:         24
        .size:           8
        .value_kind:     global_buffer
      - .address_space:  global
        .offset:         32
        .size:           8
        .value_kind:     global_buffer
      - .address_space:  global
        .offset:         40
        .size:           8
        .value_kind:     global_buffer
      - .address_space:  global
        .offset:         48
        .size:           8
        .value_kind:     global_buffer
      - .address_space:  global
        .offset:         56
        .size:           8
        .value_kind:     global_buffer
      - .address_space:  global
        .offset:         64
        .size:           8
        .value_kind:     global_buffer
      - .address_space:  global
        .offset:         72
        .size:           8
        .value_kind:     global_buffer
      - .address_space:  global
        .offset:         80
        .size:           8
        .value_kind:     global_buffer
      - .address_space:  global
        .offset:         88
        .size:           8
        .value_kind:     global_buffer
      - .address_space:  global
        .offset:         96
        .size:           8
        .value_kind:     global_buffer
      - .offset:         104
        .size:           4
        .value_kind:     by_value
      - .offset:         112
        .size:           4
        .value_kind:     hidden_block_count_x
      - .offset:         116
        .size:           4
        .value_kind:     hidden_block_count_y
      - .offset:         120
        .size:           4
        .value_kind:     hidden_block_count_z
      - .offset:         124
        .size:           2
        .value_kind:     hidden_group_size_x
      - .offset:         126
        .size:           2
        .value_kind:     hidden_group_size_y
      - .offset:         128
        .size:           2
        .value_kind:     hidden_group_size_z
      - .offset:         130
        .size:           2
        .value_kind:     hidden_remainder_x
      - .offset:         132
        .size:           2
        .value_kind:     hidden_remainder_y
      - .offset:         134
        .size:           2
        .value_kind:     hidden_remainder_z
      - .offset:         152
        .size:           8
        .value_kind:     hidden_global_offset_x
      - .offset:         160
        .size:           8
        .value_kind:     hidden_global_offset_y
      - .offset:         168
        .size:           8
        .value_kind:     hidden_global_offset_z
      - .offset:         176
        .size:           2
        .value_kind:     hidden_grid_dims
      - .offset:         192
        .size:           8
        .value_kind:     hidden_hostcall_buffer
    .group_segment_fixed_size: 36864
    .kernarg_segment_align: 8
    .kernarg_segment_size: 368
    .language:       OpenCL C
    .language_version:
      - 2
      - 0
    .max_flat_workgroup_size: 1024
    .name:           _Z16EvaluateNodeWaveiPiS_S_S_S_S_PN2rw3CutES2_S_PNS0_7LibraryEPNS0_9TableNodeEPKii
    .private_segment_fixed_size: 592
    .sgpr_count:     107
    .sgpr_spill_count: 3
    .symbol:         _Z16EvaluateNodeWaveiPiS_S_S_S_S_PN2rw3CutES2_S_PNS0_7LibraryEPNS0_9TableNodeEPKii.kd
    .uniform_work_group_size: 1
    .uses_dynamic_stack: true
    .vgpr_count:     91
    .vgpr_spill_count: 0
    .wavefront_size: 32
    .workgroup_processor_mode: 1
amdhsa.target:   amdgcn-amd-amdhsa--gfx1100
amdhsa.version:
  - 1
  - 2
...

	.end_amdgpu_metadata
